;; amdgpu-corpus repo=ROCm/rocFFT kind=compiled arch=gfx1030 opt=O3
	.text
	.amdgcn_target "amdgcn-amd-amdhsa--gfx1030"
	.amdhsa_code_object_version 6
	.protected	bluestein_single_back_len1683_dim1_dp_op_CI_CI ; -- Begin function bluestein_single_back_len1683_dim1_dp_op_CI_CI
	.globl	bluestein_single_back_len1683_dim1_dp_op_CI_CI
	.p2align	8
	.type	bluestein_single_back_len1683_dim1_dp_op_CI_CI,@function
bluestein_single_back_len1683_dim1_dp_op_CI_CI: ; @bluestein_single_back_len1683_dim1_dp_op_CI_CI
; %bb.0:
	s_load_dwordx4 s[8:11], s[4:5], 0x28
	v_mul_u32_u24_e32 v1, 0x506, v0
	s_mov_b64 s[62:63], s[2:3]
	s_mov_b64 s[60:61], s[0:1]
	v_mov_b32_e32 v6, 0
	s_add_u32 s60, s60, s7
	v_lshrrev_b32_e32 v1, 16, v1
	s_addc_u32 s61, s61, 0
	s_mov_b32 s0, exec_lo
	v_add_nc_u32_e32 v5, s6, v1
	s_waitcnt lgkmcnt(0)
	v_cmpx_gt_u64_e64 s[8:9], v[5:6]
	s_cbranch_execz .LBB0_15
; %bb.1:
	s_clause 0x1
	s_load_dwordx4 s[0:3], s[4:5], 0x18
	s_load_dwordx2 s[6:7], s[4:5], 0x0
	v_mul_lo_u16 v1, v1, 51
	v_mov_b32_e32 v6, v5
	v_sub_nc_u16 v2, v0, v1
	v_and_b32_e32 v243, 0xffff, v2
	v_lshlrev_b32_e32 v244, 4, v243
	s_waitcnt lgkmcnt(0)
	s_load_dwordx4 s[12:15], s[0:1], 0x0
	s_clause 0x1
	global_load_dwordx4 v[102:105], v244, s[6:7]
	global_load_dwordx4 v[98:101], v244, s[6:7] offset:1584
	v_add_co_u32 v71, s0, s6, v244
	v_add_co_ci_u32_e64 v72, null, s7, 0, s0
	buffer_store_dword v6, off, s[60:63], 0 offset:140 ; 4-byte Folded Spill
	buffer_store_dword v7, off, s[60:63], 0 offset:144 ; 4-byte Folded Spill
	v_add_co_u32 v22, vcc_lo, 0x800, v71
	v_add_co_ci_u32_e32 v23, vcc_lo, 0, v72, vcc_lo
	v_add_co_u32 v14, vcc_lo, 0x1000, v71
	buffer_store_dword v22, off, s[60:63], 0 offset:100 ; 4-byte Folded Spill
	buffer_store_dword v23, off, s[60:63], 0 offset:104 ; 4-byte Folded Spill
	v_add_co_ci_u32_e32 v15, vcc_lo, 0, v72, vcc_lo
	v_add_co_u32 v18, vcc_lo, 0x1800, v71
	v_add_co_ci_u32_e32 v19, vcc_lo, 0, v72, vcc_lo
	v_add_co_u32 v24, vcc_lo, 0x2000, v71
	;; [unrolled: 2-line block ×6, first 2 shown]
	v_add_co_ci_u32_e32 v9, vcc_lo, 0, v72, vcc_lo
	s_waitcnt lgkmcnt(0)
	v_mad_u64_u32 v[0:1], null, s14, v5, 0
	v_mad_u64_u32 v[3:4], null, s12, v243, 0
	s_mul_i32 s1, s13, 0x63
	s_mul_hi_u32 s8, s12, 0x63
	s_mul_i32 s0, s12, 0x63
	s_add_i32 s1, s8, s1
	v_mad_u64_u32 v[5:6], null, s15, v5, v[1:2]
	s_lshl_b64 s[16:17], s[0:1], 4
	s_load_dwordx2 s[14:15], s[4:5], 0x38
	v_mad_u64_u32 v[6:7], null, s13, v243, v[4:5]
	v_mov_b32_e32 v1, v5
	v_lshlrev_b64 v[0:1], 4, v[0:1]
	v_mov_b32_e32 v4, v6
	v_lshlrev_b64 v[6:7], 4, v[3:4]
	v_add_co_u32 v4, vcc_lo, s10, v0
	v_add_co_ci_u32_e32 v5, vcc_lo, s11, v1, vcc_lo
	v_add_co_u32 v0, vcc_lo, v4, v6
	v_add_co_ci_u32_e32 v1, vcc_lo, v5, v7, vcc_lo
	v_add_co_u32 v10, vcc_lo, v0, s16
	v_add_co_ci_u32_e32 v11, vcc_lo, s17, v1, vcc_lo
	global_load_dwordx4 v[162:165], v[22:23], off offset:1120
	buffer_store_dword v14, off, s[60:63], 0 offset:84 ; 4-byte Folded Spill
	buffer_store_dword v15, off, s[60:63], 0 offset:88 ; 4-byte Folded Spill
	s_clause 0x1
	global_load_dwordx4 v[110:113], v[18:19], off offset:192
	global_load_dwordx4 v[114:117], v[14:15], off offset:656
	buffer_store_dword v18, off, s[60:63], 0 offset:76 ; 4-byte Folded Spill
	buffer_store_dword v19, off, s[60:63], 0 offset:80 ; 4-byte Folded Spill
	v_add_co_u32 v14, vcc_lo, v10, s16
	v_add_co_ci_u32_e32 v15, vcc_lo, s17, v11, vcc_lo
	global_load_dwordx4 v[106:109], v[18:19], off offset:1776
	buffer_store_dword v24, off, s[60:63], 0 offset:116 ; 4-byte Folded Spill
	buffer_store_dword v25, off, s[60:63], 0 offset:120 ; 4-byte Folded Spill
	v_add_co_u32 v18, vcc_lo, v14, s16
	v_add_co_ci_u32_e32 v19, vcc_lo, s17, v15, vcc_lo
	v_add_co_u32 v22, vcc_lo, v18, s16
	v_add_co_ci_u32_e32 v23, vcc_lo, s17, v19, vcc_lo
	;; [unrolled: 2-line block ×4, first 2 shown]
	global_load_dwordx4 v[158:161], v[24:25], off offset:1312
	buffer_store_dword v16, off, s[60:63], 0 offset:44 ; 4-byte Folded Spill
	buffer_store_dword v17, off, s[60:63], 0 offset:48 ; 4-byte Folded Spill
	s_clause 0x1
	global_load_dwordx4 v[150:153], v[12:13], off offset:384
	global_load_dwordx4 v[154:157], v[16:17], off offset:848
	buffer_store_dword v12, off, s[60:63], 0 offset:36 ; 4-byte Folded Spill
	buffer_store_dword v13, off, s[60:63], 0 offset:40 ; 4-byte Folded Spill
	global_load_dwordx4 v[126:129], v[12:13], off offset:1968
	buffer_store_dword v20, off, s[60:63], 0 offset:60 ; 4-byte Folded Spill
	buffer_store_dword v21, off, s[60:63], 0 offset:64 ; 4-byte Folded Spill
	global_load_dwordx4 v[122:125], v[20:21], off offset:1504
	buffer_store_dword v8, off, s[60:63], 0 offset:20 ; 4-byte Folded Spill
	buffer_store_dword v9, off, s[60:63], 0 offset:24 ; 4-byte Folded Spill
	global_load_dwordx4 v[118:121], v[8:9], off offset:1040
	s_clause 0x1
	global_load_dwordx4 v[6:9], v[0:1], off
	global_load_dwordx4 v[10:13], v[10:11], off
	v_add_co_u32 v0, vcc_lo, v30, s16
	v_add_co_ci_u32_e32 v1, vcc_lo, s17, v31, vcc_lo
	s_clause 0x1
	global_load_dwordx4 v[14:17], v[14:15], off
	global_load_dwordx4 v[18:21], v[18:19], off
	v_add_co_u32 v38, vcc_lo, v0, s16
	v_add_co_ci_u32_e32 v39, vcc_lo, s17, v1, vcc_lo
	global_load_dwordx4 v[22:25], v[22:23], off
	v_add_co_u32 v42, vcc_lo, v38, s16
	v_add_co_ci_u32_e32 v43, vcc_lo, s17, v39, vcc_lo
	;; [unrolled: 3-line block ×4, first 2 shown]
	global_load_dwordx4 v[34:37], v[0:1], off
	global_load_dwordx4 v[38:41], v[38:39], off
	;; [unrolled: 1-line block ×5, first 2 shown]
	v_add_co_u32 v0, vcc_lo, v54, s16
	v_add_co_ci_u32_e32 v1, vcc_lo, s17, v55, vcc_lo
	v_add_co_u32 v62, vcc_lo, 0x4800, v71
	v_add_co_ci_u32_e32 v63, vcc_lo, 0, v72, vcc_lo
	;; [unrolled: 2-line block ×5, first 2 shown]
	global_load_dwordx4 v[54:57], v[0:1], off
	global_load_dwordx4 v[58:61], v[58:59], off
	buffer_store_dword v62, off, s[60:63], 0 offset:68 ; 4-byte Folded Spill
	buffer_store_dword v63, off, s[60:63], 0 offset:72 ; 4-byte Folded Spill
	s_clause 0x1
	global_load_dwordx4 v[134:137], v[62:63], off offset:576
	global_load_dwordx4 v[130:133], v[68:69], off offset:112
	global_load_dwordx4 v[62:65], v[66:67], off
	v_add_co_u32 v66, vcc_lo, v66, s16
	v_add_co_ci_u32_e32 v67, vcc_lo, s17, v67, vcc_lo
	v_add_co_u32 v73, vcc_lo, 0x5800, v71
	v_add_co_ci_u32_e32 v74, vcc_lo, 0, v72, vcc_lo
	v_add_co_u32 v70, vcc_lo, 0x6000, v71
	buffer_store_dword v71, off, s[60:63], 0 offset:92 ; 4-byte Folded Spill
	buffer_store_dword v72, off, s[60:63], 0 offset:96 ; 4-byte Folded Spill
	;; [unrolled: 1-line block ×4, first 2 shown]
	s_waitcnt vmcnt(15)
	v_mul_f64 v[78:79], v[12:13], v[100:101]
	s_waitcnt vmcnt(14)
	v_mul_f64 v[82:83], v[16:17], v[164:165]
	;; [unrolled: 2-line block ×5, first 2 shown]
	v_mul_f64 v[76:77], v[6:7], v[104:105]
	v_mul_f64 v[80:81], v[10:11], v[100:101]
	;; [unrolled: 1-line block ×6, first 2 shown]
	v_fma_f64 v[10:11], v[10:11], v[98:99], v[78:79]
	v_fma_f64 v[14:15], v[14:15], v[162:163], v[82:83]
	;; [unrolled: 1-line block ×5, first 2 shown]
	s_waitcnt vmcnt(9)
	v_mul_f64 v[78:79], v[36:37], v[156:157]
	s_waitcnt vmcnt(8)
	v_mul_f64 v[82:83], v[40:41], v[152:153]
	;; [unrolled: 2-line block ×5, first 2 shown]
	v_add_co_ci_u32_e32 v71, vcc_lo, 0, v72, vcc_lo
	v_add_co_u32 v0, vcc_lo, v66, s16
	v_add_co_ci_u32_e32 v1, vcc_lo, s17, v67, vcc_lo
	global_load_dwordx4 v[138:141], v[68:69], off offset:1696
	global_load_dwordx4 v[66:69], v[66:67], off
	buffer_store_dword v73, off, s[60:63], 0 offset:108 ; 4-byte Folded Spill
	buffer_store_dword v74, off, s[60:63], 0 offset:112 ; 4-byte Folded Spill
	v_cmp_gt_u16_e32 vcc_lo, 48, v2
	v_or_b32_e32 v2, 0x600, v243
	global_load_dwordx4 v[142:145], v[73:74], off offset:1232
	buffer_store_dword v70, off, s[60:63], 0 offset:28 ; 4-byte Folded Spill
	buffer_store_dword v71, off, s[60:63], 0 offset:32 ; 4-byte Folded Spill
	v_mul_f64 v[74:75], v[8:9], v[104:105]
	global_load_dwordx4 v[146:149], v[70:71], off offset:768
	global_load_dwordx4 v[70:73], v[0:1], off
	v_fma_f64 v[6:7], v[6:7], v[102:103], v[74:75]
	buffer_store_dword v102, off, s[60:63], 0 offset:196 ; 4-byte Folded Spill
	buffer_store_dword v103, off, s[60:63], 0 offset:200 ; 4-byte Folded Spill
	buffer_store_dword v104, off, s[60:63], 0 offset:204 ; 4-byte Folded Spill
	buffer_store_dword v105, off, s[60:63], 0 offset:208 ; 4-byte Folded Spill
	buffer_store_dword v98, off, s[60:63], 0 offset:124 ; 4-byte Folded Spill
	buffer_store_dword v99, off, s[60:63], 0 offset:128 ; 4-byte Folded Spill
	buffer_store_dword v100, off, s[60:63], 0 offset:132 ; 4-byte Folded Spill
	buffer_store_dword v101, off, s[60:63], 0 offset:136 ; 4-byte Folded Spill
	buffer_store_dword v162, off, s[60:63], 0 offset:388 ; 4-byte Folded Spill
	buffer_store_dword v163, off, s[60:63], 0 offset:392 ; 4-byte Folded Spill
	buffer_store_dword v164, off, s[60:63], 0 offset:396 ; 4-byte Folded Spill
	buffer_store_dword v165, off, s[60:63], 0 offset:400 ; 4-byte Folded Spill
	buffer_store_dword v114, off, s[60:63], 0 offset:372 ; 4-byte Folded Spill
	buffer_store_dword v115, off, s[60:63], 0 offset:376 ; 4-byte Folded Spill
	buffer_store_dword v116, off, s[60:63], 0 offset:380 ; 4-byte Folded Spill
	buffer_store_dword v117, off, s[60:63], 0 offset:384 ; 4-byte Folded Spill
	buffer_store_dword v110, off, s[60:63], 0 offset:340 ; 4-byte Folded Spill
	buffer_store_dword v111, off, s[60:63], 0 offset:344 ; 4-byte Folded Spill
	buffer_store_dword v112, off, s[60:63], 0 offset:348 ; 4-byte Folded Spill
	buffer_store_dword v113, off, s[60:63], 0 offset:352 ; 4-byte Folded Spill
	buffer_store_dword v106, off, s[60:63], 0 offset:324 ; 4-byte Folded Spill
	buffer_store_dword v107, off, s[60:63], 0 offset:328 ; 4-byte Folded Spill
	buffer_store_dword v108, off, s[60:63], 0 offset:332 ; 4-byte Folded Spill
	buffer_store_dword v109, off, s[60:63], 0 offset:336 ; 4-byte Folded Spill
	v_mul_f64 v[74:75], v[32:33], v[160:161]
	s_waitcnt vmcnt(7)
	v_mul_f64 v[100:101], v[54:55], v[136:137]
	s_waitcnt vmcnt(6)
	;; [unrolled: 2-line block ×4, first 2 shown]
	v_mul_f64 v[112:113], v[66:67], v[144:145]
	v_fma_f64 v[8:9], v[8:9], v[102:103], -v[76:77]
	v_fma_f64 v[12:13], v[12:13], v[98:99], -v[80:81]
	v_mul_f64 v[98:99], v[56:57], v[136:137]
	v_mul_f64 v[102:103], v[60:61], v[132:133]
	v_fma_f64 v[24:25], v[24:25], v[110:111], -v[92:93]
	v_fma_f64 v[28:29], v[28:29], v[106:107], -v[96:97]
	v_mul_f64 v[106:107], v[64:65], v[140:141]
	v_mul_f64 v[110:111], v[68:69], v[144:145]
	v_fma_f64 v[20:21], v[20:21], v[114:115], -v[88:89]
	s_waitcnt vmcnt(0)
	v_mul_f64 v[114:115], v[72:73], v[148:149]
	v_mul_f64 v[76:77], v[30:31], v[160:161]
	v_fma_f64 v[16:17], v[16:17], v[162:163], -v[84:85]
	v_mul_f64 v[80:81], v[34:35], v[156:157]
	v_mul_f64 v[84:85], v[38:39], v[152:153]
	;; [unrolled: 1-line block ×5, first 2 shown]
	v_fma_f64 v[30:31], v[30:31], v[158:159], v[74:75]
	buffer_store_dword v158, off, s[60:63], 0 offset:356 ; 4-byte Folded Spill
	buffer_store_dword v159, off, s[60:63], 0 offset:360 ; 4-byte Folded Spill
	buffer_store_dword v160, off, s[60:63], 0 offset:364 ; 4-byte Folded Spill
	buffer_store_dword v161, off, s[60:63], 0 offset:368 ; 4-byte Folded Spill
	v_fma_f64 v[34:35], v[34:35], v[154:155], v[78:79]
	buffer_store_dword v154, off, s[60:63], 0 offset:308 ; 4-byte Folded Spill
	buffer_store_dword v155, off, s[60:63], 0 offset:312 ; 4-byte Folded Spill
	buffer_store_dword v156, off, s[60:63], 0 offset:316 ; 4-byte Folded Spill
	buffer_store_dword v157, off, s[60:63], 0 offset:320 ; 4-byte Folded Spill
	;; [unrolled: 5-line block ×10, first 2 shown]
	v_mul_f64 v[116:117], v[70:71], v[148:149]
	v_fma_f64 v[70:71], v[70:71], v[146:147], v[114:115]
	buffer_store_dword v146, off, s[60:63], 0 offset:276 ; 4-byte Folded Spill
	buffer_store_dword v147, off, s[60:63], 0 offset:280 ; 4-byte Folded Spill
	;; [unrolled: 1-line block ×4, first 2 shown]
	s_load_dwordx4 s[8:11], s[2:3], 0x0
	v_fma_f64 v[32:33], v[32:33], v[158:159], -v[76:77]
	v_fma_f64 v[36:37], v[36:37], v[154:155], -v[80:81]
	;; [unrolled: 1-line block ×7, first 2 shown]
	ds_write_b128 v244, v[6:9]
	ds_write_b128 v244, v[10:13] offset:1584
	ds_write_b128 v244, v[14:17] offset:3168
	;; [unrolled: 1-line block ×12, first 2 shown]
	v_fma_f64 v[60:61], v[60:61], v[130:131], -v[104:105]
	v_fma_f64 v[64:65], v[64:65], v[138:139], -v[108:109]
	;; [unrolled: 1-line block ×4, first 2 shown]
	buffer_store_dword v2, off, s[60:63], 0 offset:1328 ; 4-byte Folded Spill
	ds_write_b128 v244, v[58:61] offset:20592
	ds_write_b128 v244, v[62:65] offset:22176
	;; [unrolled: 1-line block ×4, first 2 shown]
	s_and_saveexec_b32 s1, vcc_lo
	s_cbranch_execz .LBB0_3
; %bb.2:
	v_mad_u64_u32 v[18:19], null, 0xffffa030, s12, v[0:1]
	s_clause 0x1
	buffer_load_dword v0, off, s[60:63], 0 offset:92
	buffer_load_dword v1, off, s[60:63], 0 offset:96
	s_mul_i32 s0, s13, 0xffffa030
	v_or_b32_e32 v45, 0x600, v243
	s_sub_i32 s0, s0, s12
	v_add_nc_u32_e32 v19, s0, v19
	v_add_co_u32 v22, s0, v18, s16
	v_mad_u64_u32 v[42:43], null, s12, v45, 0
	v_add_co_ci_u32_e64 v23, s0, s17, v19, s0
	v_add_co_u32 v26, s0, v22, s16
	v_lshlrev_b32_e32 v46, 4, v45
	v_add_co_ci_u32_e64 v27, s0, s17, v23, s0
	v_add_co_u32 v30, s0, v26, s16
	v_mov_b32_e32 v38, v43
	v_add_co_ci_u32_e64 v31, s0, s17, v27, s0
	v_add_co_u32 v34, s0, v30, s16
	v_mad_u64_u32 v[43:44], null, s13, v45, v[38:39]
	v_add_co_ci_u32_e64 v35, s0, s17, v31, s0
	v_add_co_u32 v50, s0, v34, s16
	v_add_co_ci_u32_e64 v51, s0, s17, v35, s0
	v_add_co_u32 v58, s0, v50, s16
	v_lshlrev_b64 v[42:43], 4, v[42:43]
	v_add_co_ci_u32_e64 v59, s0, s17, v51, s0
	v_add_co_u32 v66, s0, v58, s16
	v_add_co_ci_u32_e64 v67, s0, s17, v59, s0
	v_add_co_u32 v74, s0, v66, s16
	;; [unrolled: 2-line block ×8, first 2 shown]
	v_add_co_ci_u32_e64 v111, s0, s17, v107, s0
	s_waitcnt vmcnt(0)
	global_load_dwordx4 v[0:3], v[0:1], off offset:816
	s_clause 0x1
	buffer_load_dword v10, off, s[60:63], 0 offset:100
	buffer_load_dword v11, off, s[60:63], 0 offset:104
	s_waitcnt vmcnt(0)
	s_clause 0x1
	global_load_dwordx4 v[6:9], v[10:11], off offset:352
	global_load_dwordx4 v[10:13], v[10:11], off offset:1936
	s_clause 0x1
	buffer_load_dword v14, off, s[60:63], 0 offset:84
	buffer_load_dword v15, off, s[60:63], 0 offset:88
	global_load_dwordx4 v[18:21], v[18:19], off
	global_load_dwordx4 v[22:25], v[22:23], off
	;; [unrolled: 1-line block ×5, first 2 shown]
	s_waitcnt vmcnt(5)
	global_load_dwordx4 v[14:17], v[14:15], off offset:1472
	s_clause 0x1
	buffer_load_dword v38, off, s[60:63], 0 offset:76
	buffer_load_dword v39, off, s[60:63], 0 offset:80
	s_waitcnt vmcnt(7)
	v_mul_f64 v[138:139], v[18:19], v[2:3]
	s_waitcnt vmcnt(6)
	v_mul_f64 v[140:141], v[24:25], v[8:9]
	v_mul_f64 v[8:9], v[22:23], v[8:9]
	s_waitcnt vmcnt(5)
	v_mul_f64 v[142:143], v[28:29], v[12:13]
	v_mul_f64 v[12:13], v[26:27], v[12:13]
	s_waitcnt vmcnt(2)
	v_mul_f64 v[144:145], v[32:33], v[16:17]
	s_waitcnt vmcnt(0)
	global_load_dwordx4 v[38:41], v[38:39], off offset:1008
	global_load_dwordx4 v[42:45], v[4:5], off
	global_load_dwordx4 v[46:49], v46, s[6:7]
	global_load_dwordx4 v[50:53], v[50:51], off
	s_clause 0x1
	buffer_load_dword v54, off, s[60:63], 0 offset:116
	buffer_load_dword v55, off, s[60:63], 0 offset:120
	v_add_co_u32 v4, s0, v110, s16
	v_add_co_ci_u32_e64 v5, s0, s17, v111, s0
	v_mul_f64 v[146:147], v[30:31], v[16:17]
	v_fma_f64 v[16:17], v[22:23], v[6:7], v[140:141]
	s_waitcnt vmcnt(0)
	global_load_dwordx4 v[54:57], v[54:55], off offset:544
	global_load_dwordx4 v[58:61], v[58:59], off
	s_clause 0x1
	buffer_load_dword v70, off, s[60:63], 0 offset:44
	buffer_load_dword v71, off, s[60:63], 0 offset:48
	v_mad_u64_u32 v[134:135], null, 0xc60, s12, v[4:5]
	v_mul_f64 v[150:151], v[44:45], v[48:49]
	v_mul_f64 v[48:49], v[42:43], v[48:49]
	;; [unrolled: 1-line block ×4, first 2 shown]
	s_waitcnt vmcnt(0)
	global_load_dwordx4 v[62:65], v[70:71], off offset:80
	global_load_dwordx4 v[66:69], v[66:67], off
	global_load_dwordx4 v[70:73], v[70:71], off offset:1664
	global_load_dwordx4 v[74:77], v[74:75], off
	s_clause 0x1
	buffer_load_dword v78, off, s[60:63], 0 offset:36
	buffer_load_dword v79, off, s[60:63], 0 offset:40
	v_mov_b32_e32 v92, v135
	v_fma_f64 v[22:23], v[36:37], v[38:39], -v[40:41]
	s_waitcnt vmcnt(0)
	global_load_dwordx4 v[78:81], v[78:79], off offset:1200
	global_load_dwordx4 v[82:85], v[82:83], off
	s_clause 0x1
	buffer_load_dword v86, off, s[60:63], 0 offset:60
	buffer_load_dword v87, off, s[60:63], 0 offset:64
	v_mad_u64_u32 v[118:119], null, 0xc60, s13, v[92:93]
	v_mul_f64 v[140:141], v[68:69], v[72:73]
	v_mul_f64 v[72:73], v[66:67], v[72:73]
	v_mov_b32_e32 v135, v118
	v_fma_f64 v[36:37], v[66:67], v[70:71], v[140:141]
	s_waitcnt vmcnt(0)
	global_load_dwordx4 v[86:89], v[86:87], off offset:736
	global_load_dwordx4 v[90:93], v[90:91], off
	global_load_dwordx4 v[94:97], v[94:95], off
	s_clause 0x1
	buffer_load_dword v102, off, s[60:63], 0 offset:20
	buffer_load_dword v103, off, s[60:63], 0 offset:24
	s_waitcnt vmcnt(0)
	s_clause 0x1
	global_load_dwordx4 v[98:101], v[102:103], off offset:272
	global_load_dwordx4 v[102:105], v[102:103], off offset:1856
	global_load_dwordx4 v[106:109], v[106:107], off
	global_load_dwordx4 v[110:113], v[110:111], off
	s_clause 0x1
	buffer_load_dword v114, off, s[60:63], 0 offset:68
	buffer_load_dword v115, off, s[60:63], 0 offset:72
	s_waitcnt vmcnt(0)
	global_load_dwordx4 v[114:117], v[114:115], off offset:1392
	s_clause 0x1
	buffer_load_dword v118, off, s[60:63], 0 offset:52
	buffer_load_dword v119, off, s[60:63], 0 offset:56
	s_waitcnt vmcnt(0)
	global_load_dwordx4 v[118:121], v[118:119], off offset:928
	global_load_dwordx4 v[122:125], v[4:5], off
	s_clause 0x1
	buffer_load_dword v4, off, s[60:63], 0 offset:108
	buffer_load_dword v5, off, s[60:63], 0 offset:112
	s_waitcnt vmcnt(0)
	global_load_dwordx4 v[126:129], v[4:5], off offset:464
	s_clause 0x1
	buffer_load_dword v4, off, s[60:63], 0 offset:28
	buffer_load_dword v5, off, s[60:63], 0 offset:32
	s_waitcnt vmcnt(0)
	global_load_dwordx4 v[130:133], v[4:5], off offset:1584
	global_load_dwordx4 v[134:137], v[134:135], off
	v_mul_f64 v[4:5], v[20:21], v[2:3]
	v_fma_f64 v[2:3], v[18:19], v[0:1], v[4:5]
	v_fma_f64 v[4:5], v[20:21], v[0:1], -v[138:139]
	v_mul_f64 v[0:1], v[52:53], v[56:57]
	v_mul_f64 v[56:57], v[50:51], v[56:57]
	;; [unrolled: 1-line block ×4, first 2 shown]
	v_fma_f64 v[18:19], v[24:25], v[6:7], -v[8:9]
	v_fma_f64 v[6:7], v[26:27], v[10:11], v[142:143]
	v_fma_f64 v[8:9], v[28:29], v[10:11], -v[12:13]
	v_fma_f64 v[10:11], v[30:31], v[14:15], v[144:145]
	v_fma_f64 v[12:13], v[32:33], v[14:15], -v[146:147]
	v_mul_f64 v[14:15], v[76:77], v[80:81]
	v_mul_f64 v[80:81], v[74:75], v[80:81]
	;; [unrolled: 1-line block ×4, first 2 shown]
	v_fma_f64 v[26:27], v[44:45], v[46:47], -v[48:49]
	v_mul_f64 v[48:49], v[92:93], v[100:101]
	v_mul_f64 v[100:101], v[90:91], v[100:101]
	;; [unrolled: 1-line block ×6, first 2 shown]
	v_fma_f64 v[20:21], v[34:35], v[38:39], v[148:149]
	v_mul_f64 v[148:149], v[112:113], v[120:121]
	v_mul_f64 v[120:121], v[110:111], v[120:121]
	v_fma_f64 v[24:25], v[42:43], v[46:47], v[150:151]
	v_mul_f64 v[150:151], v[124:125], v[128:129]
	v_mul_f64 v[128:129], v[122:123], v[128:129]
	v_fma_f64 v[28:29], v[50:51], v[54:55], v[0:1]
	v_fma_f64 v[30:31], v[52:53], v[54:55], -v[56:57]
	v_fma_f64 v[32:33], v[58:59], v[62:63], v[138:139]
	v_fma_f64 v[34:35], v[60:61], v[62:63], -v[64:65]
	v_fma_f64 v[38:39], v[68:69], v[70:71], -v[72:73]
	v_fma_f64 v[40:41], v[74:75], v[78:79], v[14:15]
	v_fma_f64 v[42:43], v[76:77], v[78:79], -v[80:81]
	v_fma_f64 v[44:45], v[82:83], v[86:87], v[142:143]
	;; [unrolled: 2-line block ×7, first 2 shown]
	v_fma_f64 v[66:67], v[124:125], v[126:127], -v[128:129]
	s_waitcnt vmcnt(0)
	v_mul_f64 v[152:153], v[136:137], v[132:133]
	v_mul_f64 v[132:133], v[134:135], v[132:133]
	v_fma_f64 v[68:69], v[134:135], v[130:131], v[152:153]
	v_fma_f64 v[70:71], v[136:137], v[130:131], -v[132:133]
	ds_write_b128 v244, v[2:5] offset:816
	ds_write_b128 v244, v[16:19] offset:2400
	;; [unrolled: 1-line block ×17, first 2 shown]
.LBB0_3:
	s_or_b32 exec_lo, exec_lo, s1
	s_waitcnt lgkmcnt(0)
	s_waitcnt_vscnt null, 0x0
	s_barrier
	buffer_gl0_inv
	ds_read_b128 v[68:71], v244
	ds_read_b128 v[72:75], v244 offset:1584
	ds_read_b128 v[76:79], v244 offset:3168
	ds_read_b128 v[84:87], v244 offset:4752
	ds_read_b128 v[92:95], v244 offset:6336
	ds_read_b128 v[104:107], v244 offset:7920
	ds_read_b128 v[112:115], v244 offset:9504
	ds_read_b128 v[120:123], v244 offset:11088
	ds_read_b128 v[132:135], v244 offset:12672
	ds_read_b128 v[128:131], v244 offset:14256
	ds_read_b128 v[124:127], v244 offset:15840
	ds_read_b128 v[116:119], v244 offset:17424
	ds_read_b128 v[108:111], v244 offset:19008
	ds_read_b128 v[100:103], v244 offset:20592
	ds_read_b128 v[96:99], v244 offset:22176
	ds_read_b128 v[88:91], v244 offset:23760
	ds_read_b128 v[80:83], v244 offset:25344
	s_load_dwordx2 s[2:3], s[4:5], 0x8
                                        ; implicit-def: $vgpr20_vgpr21
                                        ; implicit-def: $vgpr64_vgpr65
                                        ; implicit-def: $vgpr60_vgpr61
                                        ; implicit-def: $vgpr52_vgpr53
                                        ; implicit-def: $vgpr44_vgpr45
                                        ; implicit-def: $vgpr36_vgpr37
                                        ; implicit-def: $vgpr32_vgpr33
                                        ; implicit-def: $vgpr40_vgpr41
                                        ; implicit-def: $vgpr48_vgpr49
                                        ; implicit-def: $vgpr56_vgpr57
                                        ; implicit-def: $vgpr28_vgpr29
                                        ; implicit-def: $vgpr24_vgpr25
                                        ; implicit-def: $vgpr16_vgpr17
                                        ; implicit-def: $vgpr12_vgpr13
                                        ; implicit-def: $vgpr8_vgpr9
                                        ; implicit-def: $vgpr4_vgpr5
                                        ; implicit-def: $vgpr0_vgpr1
	s_and_saveexec_b32 s0, vcc_lo
	s_cbranch_execz .LBB0_5
; %bb.4:
	ds_read_b128 v[20:23], v244 offset:816
	ds_read_b128 v[64:67], v244 offset:2400
	;; [unrolled: 1-line block ×17, first 2 shown]
.LBB0_5:
	s_or_b32 exec_lo, exec_lo, s0
	s_waitcnt lgkmcnt(0)
	v_add_f64 v[136:137], v[68:69], v[72:73]
	v_add_f64 v[138:139], v[70:71], v[74:75]
	v_add_f64 v[154:155], v[134:135], -v[130:131]
	v_add_f64 v[152:153], v[132:133], -v[128:129]
	;; [unrolled: 1-line block ×6, first 2 shown]
	v_add_f64 v[140:141], v[92:93], v[100:101]
	v_add_f64 v[142:143], v[94:95], v[102:103]
	v_add_f64 v[168:169], v[92:93], -v[100:101]
	v_add_f64 v[170:171], v[94:95], -v[102:103]
	v_add_f64 v[144:145], v[84:85], v[96:97]
	v_add_f64 v[146:147], v[86:87], v[98:99]
	v_add_f64 v[172:173], v[84:85], -v[96:97]
	v_add_f64 v[174:175], v[86:87], -v[98:99]
	;; [unrolled: 4-line block ×3, first 2 shown]
	s_mov_b32 s16, 0x5d8e7cdc
	s_mov_b32 s20, 0x2a9d6da3
	v_add_f64 v[136:137], v[136:137], v[76:77]
	v_add_f64 v[138:139], v[138:139], v[78:79]
	s_mov_b32 s30, 0x7c9e640b
	s_mov_b32 s36, 0xeb564b22
	;; [unrolled: 1-line block ×20, first 2 shown]
	v_add_f64 v[136:137], v[136:137], v[84:85]
	v_add_f64 v[138:139], v[138:139], v[86:87]
	s_mov_b32 s18, 0x910ea3b9
	s_mov_b32 s34, 0x7faef3
	;; [unrolled: 1-line block ×20, first 2 shown]
	v_add_f64 v[136:137], v[136:137], v[92:93]
	v_add_f64 v[138:139], v[138:139], v[94:95]
	s_mov_b32 s51, 0x3fe58eea
	s_mov_b32 s50, s20
	;; [unrolled: 1-line block ×6, first 2 shown]
	v_mul_f64 v[227:228], v[180:181], s[46:47]
	v_mul_f64 v[229:230], v[174:175], s[36:37]
	;; [unrolled: 1-line block ×11, first 2 shown]
	v_add_f64 v[136:137], v[136:137], v[104:105]
	v_add_f64 v[138:139], v[138:139], v[106:107]
	;; [unrolled: 1-line block ×14, first 2 shown]
	v_add_f64 v[122:123], v[114:115], -v[118:119]
	v_add_f64 v[120:121], v[112:113], -v[116:117]
	v_add_f64 v[136:137], v[136:137], v[124:125]
	v_add_f64 v[138:139], v[138:139], v[126:127]
	;; [unrolled: 1-line block ×4, first 2 shown]
	v_mul_f64 v[241:242], v[122:123], s[42:43]
	v_mul_f64 v[245:246], v[120:121], s[42:43]
	v_add_f64 v[112:113], v[136:137], v[116:117]
	v_add_f64 v[114:115], v[138:139], v[118:119]
	;; [unrolled: 1-line block ×12, first 2 shown]
	v_add_f64 v[90:91], v[74:75], -v[82:83]
	v_add_f64 v[84:85], v[72:73], v[80:81]
	v_add_f64 v[86:87], v[74:75], v[82:83]
	v_add_f64 v[88:89], v[72:73], -v[80:81]
	v_add_f64 v[72:73], v[76:77], v[80:81]
	v_add_f64 v[74:75], v[78:79], v[82:83]
	v_mul_f64 v[76:77], v[90:91], s[16:17]
	v_mul_f64 v[78:79], v[90:91], s[20:21]
	;; [unrolled: 1-line block ×13, first 2 shown]
	v_fma_f64 v[98:99], v[84:85], s[0:1], -v[76:77]
	v_fma_f64 v[76:77], v[84:85], s[0:1], v[76:77]
	v_fma_f64 v[100:101], v[84:85], s[4:5], -v[78:79]
	v_fma_f64 v[78:79], v[84:85], s[4:5], v[78:79]
	;; [unrolled: 2-line block ×8, first 2 shown]
	v_mul_f64 v[90:91], v[88:89], s[16:17]
	v_mul_f64 v[96:97], v[88:89], s[20:21]
	;; [unrolled: 1-line block ×3, first 2 shown]
	v_fma_f64 v[186:187], v[86:87], s[12:13], v[108:109]
	v_fma_f64 v[108:109], v[86:87], s[12:13], -v[108:109]
	v_fma_f64 v[188:189], v[86:87], s[28:29], v[110:111]
	v_fma_f64 v[110:111], v[86:87], s[28:29], -v[110:111]
	v_fma_f64 v[190:191], v[86:87], s[40:41], v[114:115]
	v_fma_f64 v[114:115], v[86:87], s[40:41], -v[114:115]
	v_fma_f64 v[192:193], v[86:87], s[22:23], v[118:119]
	v_fma_f64 v[118:119], v[86:87], s[22:23], -v[118:119]
	v_fma_f64 v[194:195], v[86:87], s[18:19], v[162:163]
	v_fma_f64 v[196:197], v[86:87], s[18:19], -v[162:163]
	v_add_f64 v[200:201], v[68:69], v[98:99]
	v_add_f64 v[204:205], v[68:69], v[76:77]
	;; [unrolled: 1-line block ×9, first 2 shown]
	v_fma_f64 v[164:165], v[86:87], s[0:1], v[90:91]
	v_fma_f64 v[90:91], v[86:87], s[0:1], -v[90:91]
	v_fma_f64 v[178:179], v[86:87], s[4:5], v[96:97]
	v_fma_f64 v[96:97], v[86:87], s[4:5], -v[96:97]
	;; [unrolled: 2-line block ×3, first 2 shown]
	v_add_f64 v[218:219], v[70:71], v[186:187]
	v_add_f64 v[88:89], v[70:71], v[108:109]
	;; [unrolled: 1-line block ×10, first 2 shown]
	v_mul_f64 v[82:83], v[174:175], s[30:31]
	v_mul_f64 v[84:85], v[172:173], s[30:31]
	;; [unrolled: 1-line block ×5, first 2 shown]
	v_add_f64 v[202:203], v[70:71], v[164:165]
	v_add_f64 v[206:207], v[70:71], v[90:91]
	;; [unrolled: 1-line block ×7, first 2 shown]
	v_mul_f64 v[68:69], v[182:183], s[20:21]
	v_add_f64 v[214:215], v[70:71], v[96:97]
	v_add_f64 v[96:97], v[70:71], v[188:189]
	;; [unrolled: 1-line block ×6, first 2 shown]
	v_mul_f64 v[80:81], v[180:181], s[20:21]
	v_mul_f64 v[86:87], v[170:171], s[36:37]
	v_fma_f64 v[78:79], v[144:145], s[12:13], -v[82:83]
	v_fma_f64 v[82:83], v[144:145], s[12:13], v[82:83]
	v_mul_f64 v[194:195], v[122:123], s[26:27]
	v_mul_f64 v[196:197], v[120:121], s[26:27]
	;; [unrolled: 1-line block ×3, first 2 shown]
	v_fma_f64 v[70:71], v[148:149], s[4:5], -v[68:69]
	v_fma_f64 v[68:69], v[148:149], s[4:5], v[68:69]
	v_fma_f64 v[76:77], v[150:151], s[4:5], v[80:81]
	v_fma_f64 v[80:81], v[150:151], s[4:5], -v[80:81]
	v_add_f64 v[70:71], v[70:71], v[200:201]
	v_add_f64 v[68:69], v[68:69], v[204:205]
	v_mul_f64 v[200:201], v[156:157], s[24:25]
	v_mul_f64 v[204:205], v[120:121], s[52:53]
	v_add_f64 v[76:77], v[76:77], v[202:203]
	v_add_f64 v[80:81], v[80:81], v[206:207]
	v_mul_f64 v[202:203], v[154:155], s[42:43]
	v_mul_f64 v[206:207], v[158:159], s[46:47]
	v_add_f64 v[70:71], v[78:79], v[70:71]
	v_fma_f64 v[78:79], v[146:147], s[12:13], v[84:85]
	v_add_f64 v[68:69], v[82:83], v[68:69]
	v_fma_f64 v[82:83], v[146:147], s[12:13], -v[84:85]
	v_add_f64 v[76:77], v[78:79], v[76:77]
	v_fma_f64 v[78:79], v[140:141], s[28:29], -v[86:87]
	v_add_f64 v[80:81], v[82:83], v[80:81]
	v_fma_f64 v[82:83], v[140:141], s[28:29], v[86:87]
	v_add_f64 v[70:71], v[78:79], v[70:71]
	v_fma_f64 v[78:79], v[142:143], s[28:29], v[92:93]
	v_add_f64 v[68:69], v[82:83], v[68:69]
	v_fma_f64 v[82:83], v[142:143], s[28:29], -v[92:93]
	v_mul_f64 v[92:93], v[180:181], s[36:37]
	v_add_f64 v[76:77], v[78:79], v[76:77]
	v_fma_f64 v[78:79], v[136:137], s[40:41], -v[94:95]
	v_add_f64 v[80:81], v[82:83], v[80:81]
	v_fma_f64 v[82:83], v[136:137], s[40:41], v[94:95]
	v_mul_f64 v[94:95], v[174:175], s[26:27]
	v_fma_f64 v[84:85], v[150:151], s[28:29], v[92:93]
	v_fma_f64 v[92:93], v[150:151], s[28:29], -v[92:93]
	v_add_f64 v[70:71], v[78:79], v[70:71]
	v_fma_f64 v[78:79], v[138:139], s[40:41], v[192:193]
	v_add_f64 v[68:69], v[82:83], v[68:69]
	v_fma_f64 v[82:83], v[138:139], s[40:41], -v[192:193]
	v_fma_f64 v[86:87], v[144:145], s[22:23], -v[94:95]
	v_mul_f64 v[192:193], v[172:173], s[26:27]
	v_add_f64 v[84:85], v[84:85], v[210:211]
	v_fma_f64 v[94:95], v[144:145], s[22:23], v[94:95]
	v_add_f64 v[92:93], v[92:93], v[214:215]
	v_mul_f64 v[210:211], v[154:155], s[48:49]
	v_add_f64 v[76:77], v[78:79], v[76:77]
	v_fma_f64 v[78:79], v[124:125], s[22:23], -v[194:195]
	v_add_f64 v[80:81], v[82:83], v[80:81]
	v_fma_f64 v[82:83], v[124:125], s[22:23], v[194:195]
	v_mul_f64 v[194:195], v[170:171], s[42:43]
	v_add_f64 v[70:71], v[78:79], v[70:71]
	v_fma_f64 v[78:79], v[126:127], s[22:23], v[196:197]
	v_add_f64 v[68:69], v[82:83], v[68:69]
	v_fma_f64 v[82:83], v[126:127], s[22:23], -v[196:197]
	v_mul_f64 v[196:197], v[168:169], s[42:43]
	v_add_f64 v[76:77], v[78:79], v[76:77]
	v_fma_f64 v[78:79], v[128:129], s[18:19], -v[198:199]
	v_add_f64 v[80:81], v[82:83], v[80:81]
	v_fma_f64 v[82:83], v[128:129], s[18:19], v[198:199]
	v_mul_f64 v[198:199], v[166:167], s[44:45]
	v_add_f64 v[70:71], v[78:79], v[70:71]
	v_fma_f64 v[78:79], v[130:131], s[18:19], v[200:201]
	v_add_f64 v[68:69], v[82:83], v[68:69]
	v_fma_f64 v[82:83], v[130:131], s[18:19], -v[200:201]
	v_mul_f64 v[200:201], v[160:161], s[44:45]
	v_add_f64 v[78:79], v[78:79], v[76:77]
	v_fma_f64 v[76:77], v[132:133], s[34:35], -v[202:203]
	v_add_f64 v[80:81], v[82:83], v[80:81]
	v_fma_f64 v[82:83], v[132:133], s[34:35], v[202:203]
	v_mul_f64 v[202:203], v[122:123], s[52:53]
	v_add_f64 v[76:77], v[76:77], v[70:71]
	v_mul_f64 v[70:71], v[152:153], s[42:43]
	v_add_f64 v[68:69], v[82:83], v[68:69]
	v_fma_f64 v[220:221], v[134:135], s[34:35], v[70:71]
	v_fma_f64 v[70:71], v[134:135], s[34:35], -v[70:71]
	v_add_f64 v[78:79], v[220:221], v[78:79]
	v_add_f64 v[70:71], v[70:71], v[80:81]
	v_mul_f64 v[80:81], v[182:183], s[36:37]
	v_fma_f64 v[82:83], v[148:149], s[28:29], -v[80:81]
	v_fma_f64 v[80:81], v[148:149], s[28:29], v[80:81]
	v_add_f64 v[82:83], v[82:83], v[208:209]
	v_add_f64 v[80:81], v[80:81], v[212:213]
	v_mul_f64 v[208:209], v[156:157], s[46:47]
	v_add_f64 v[82:83], v[86:87], v[82:83]
	v_fma_f64 v[86:87], v[146:147], s[22:23], v[192:193]
	v_add_f64 v[80:81], v[94:95], v[80:81]
	v_fma_f64 v[94:95], v[146:147], s[22:23], -v[192:193]
	v_mul_f64 v[192:193], v[182:183], s[26:27]
	v_add_f64 v[84:85], v[86:87], v[84:85]
	v_fma_f64 v[86:87], v[140:141], s[34:35], -v[194:195]
	v_add_f64 v[92:93], v[94:95], v[92:93]
	v_fma_f64 v[94:95], v[140:141], s[34:35], v[194:195]
	v_mul_f64 v[194:195], v[180:181], s[26:27]
	v_add_f64 v[82:83], v[86:87], v[82:83]
	v_fma_f64 v[86:87], v[142:143], s[34:35], v[196:197]
	v_add_f64 v[80:81], v[94:95], v[80:81]
	v_fma_f64 v[94:95], v[142:143], s[34:35], -v[196:197]
	v_mul_f64 v[196:197], v[174:175], s[54:55]
	v_add_f64 v[84:85], v[86:87], v[84:85]
	v_fma_f64 v[86:87], v[136:137], s[18:19], -v[198:199]
	v_add_f64 v[92:93], v[94:95], v[92:93]
	v_fma_f64 v[94:95], v[136:137], s[18:19], v[198:199]
	v_fma_f64 v[198:199], v[144:145], s[34:35], -v[196:197]
	v_add_f64 v[82:83], v[86:87], v[82:83]
	v_fma_f64 v[86:87], v[138:139], s[18:19], v[200:201]
	v_add_f64 v[80:81], v[94:95], v[80:81]
	v_fma_f64 v[94:95], v[138:139], s[18:19], -v[200:201]
	v_add_f64 v[84:85], v[86:87], v[84:85]
	v_fma_f64 v[86:87], v[124:125], s[40:41], -v[202:203]
	v_add_f64 v[92:93], v[94:95], v[92:93]
	v_fma_f64 v[94:95], v[124:125], s[40:41], v[202:203]
	v_add_f64 v[82:83], v[86:87], v[82:83]
	v_fma_f64 v[86:87], v[126:127], s[40:41], v[204:205]
	v_add_f64 v[80:81], v[94:95], v[80:81]
	v_fma_f64 v[94:95], v[126:127], s[40:41], -v[204:205]
	v_add_f64 v[84:85], v[86:87], v[84:85]
	v_fma_f64 v[86:87], v[128:129], s[12:13], -v[206:207]
	v_add_f64 v[92:93], v[94:95], v[92:93]
	v_fma_f64 v[94:95], v[128:129], s[12:13], v[206:207]
	;; [unrolled: 8-line block ×3, first 2 shown]
	v_add_f64 v[84:85], v[84:85], v[82:83]
	v_mul_f64 v[82:83], v[152:153], s[48:49]
	v_add_f64 v[80:81], v[94:95], v[80:81]
	v_fma_f64 v[94:95], v[150:151], s[22:23], v[194:195]
	v_fma_f64 v[220:221], v[134:135], s[0:1], v[82:83]
	v_fma_f64 v[82:83], v[134:135], s[0:1], -v[82:83]
	v_add_f64 v[94:95], v[94:95], v[218:219]
	v_add_f64 v[86:87], v[220:221], v[86:87]
	;; [unrolled: 1-line block ×3, first 2 shown]
	v_fma_f64 v[92:93], v[148:149], s[22:23], -v[192:193]
	v_fma_f64 v[192:193], v[148:149], s[22:23], v[192:193]
	v_add_f64 v[92:93], v[92:93], v[216:217]
	v_add_f64 v[90:91], v[192:193], v[90:91]
	v_fma_f64 v[192:193], v[150:151], s[22:23], -v[194:195]
	v_add_f64 v[92:93], v[198:199], v[92:93]
	v_mul_f64 v[198:199], v[172:173], s[54:55]
	v_add_f64 v[88:89], v[192:193], v[88:89]
	v_fma_f64 v[192:193], v[144:145], s[34:35], v[196:197]
	v_fma_f64 v[200:201], v[146:147], s[34:35], v[198:199]
	v_add_f64 v[90:91], v[192:193], v[90:91]
	v_fma_f64 v[192:193], v[146:147], s[34:35], -v[198:199]
	v_add_f64 v[94:95], v[200:201], v[94:95]
	v_mul_f64 v[200:201], v[170:171], s[52:53]
	v_add_f64 v[88:89], v[192:193], v[88:89]
	v_fma_f64 v[202:203], v[140:141], s[40:41], -v[200:201]
	v_fma_f64 v[192:193], v[140:141], s[40:41], v[200:201]
	v_add_f64 v[92:93], v[202:203], v[92:93]
	v_mul_f64 v[202:203], v[168:169], s[52:53]
	v_add_f64 v[90:91], v[192:193], v[90:91]
	v_fma_f64 v[204:205], v[142:143], s[40:41], v[202:203]
	v_fma_f64 v[192:193], v[142:143], s[40:41], -v[202:203]
	v_add_f64 v[94:95], v[204:205], v[94:95]
	v_mul_f64 v[204:205], v[166:167], s[50:51]
	v_add_f64 v[88:89], v[192:193], v[88:89]
	v_fma_f64 v[206:207], v[136:137], s[4:5], -v[204:205]
	v_fma_f64 v[192:193], v[136:137], s[4:5], v[204:205]
	v_add_f64 v[92:93], v[206:207], v[92:93]
	v_mul_f64 v[206:207], v[160:161], s[50:51]
	v_add_f64 v[90:91], v[192:193], v[90:91]
	v_fma_f64 v[208:209], v[138:139], s[4:5], v[206:207]
	;; [unrolled: 10-line block ×4, first 2 shown]
	v_fma_f64 v[192:193], v[130:131], s[28:29], -v[214:215]
	v_add_f64 v[94:95], v[216:217], v[94:95]
	v_mul_f64 v[216:217], v[154:155], s[24:25]
	v_add_f64 v[192:193], v[192:193], v[88:89]
	v_fma_f64 v[218:219], v[132:133], s[18:19], -v[216:217]
	v_fma_f64 v[88:89], v[132:133], s[18:19], v[216:217]
	v_add_f64 v[92:93], v[218:219], v[92:93]
	v_mul_f64 v[218:219], v[152:153], s[24:25]
	v_add_f64 v[88:89], v[88:89], v[90:91]
	v_fma_f64 v[194:195], v[134:135], s[18:19], -v[218:219]
	v_fma_f64 v[220:221], v[134:135], s[18:19], v[218:219]
	v_mul_f64 v[218:219], v[154:155], s[50:51]
	v_add_f64 v[90:91], v[194:195], v[192:193]
	v_mul_f64 v[192:193], v[182:183], s[42:43]
	v_add_f64 v[94:95], v[220:221], v[94:95]
	v_mul_f64 v[220:221], v[152:153], s[50:51]
	v_fma_f64 v[194:195], v[148:149], s[34:35], -v[192:193]
	v_fma_f64 v[192:193], v[148:149], s[34:35], v[192:193]
	v_add_f64 v[98:99], v[194:195], v[98:99]
	v_mul_f64 v[194:195], v[180:181], s[42:43]
	v_add_f64 v[102:103], v[192:193], v[102:103]
	v_fma_f64 v[196:197], v[150:151], s[34:35], v[194:195]
	v_fma_f64 v[192:193], v[150:151], s[34:35], -v[194:195]
	v_fma_f64 v[194:195], v[134:135], s[4:5], -v[220:221]
	v_add_f64 v[96:97], v[196:197], v[96:97]
	v_mul_f64 v[196:197], v[174:175], s[52:53]
	v_add_f64 v[100:101], v[192:193], v[100:101]
	v_fma_f64 v[198:199], v[144:145], s[40:41], -v[196:197]
	v_fma_f64 v[192:193], v[144:145], s[40:41], v[196:197]
	v_add_f64 v[98:99], v[198:199], v[98:99]
	v_mul_f64 v[198:199], v[172:173], s[52:53]
	v_add_f64 v[102:103], v[192:193], v[102:103]
	v_fma_f64 v[200:201], v[146:147], s[40:41], v[198:199]
	v_fma_f64 v[192:193], v[146:147], s[40:41], -v[198:199]
	v_add_f64 v[96:97], v[200:201], v[96:97]
	v_mul_f64 v[200:201], v[170:171], s[48:49]
	v_add_f64 v[100:101], v[192:193], v[100:101]
	v_fma_f64 v[202:203], v[140:141], s[0:1], -v[200:201]
	v_fma_f64 v[192:193], v[140:141], s[0:1], v[200:201]
	v_add_f64 v[98:99], v[202:203], v[98:99]
	v_mul_f64 v[202:203], v[168:169], s[48:49]
	v_add_f64 v[102:103], v[192:193], v[102:103]
	v_fma_f64 v[204:205], v[142:143], s[0:1], v[202:203]
	;; [unrolled: 10-line block ×4, first 2 shown]
	v_fma_f64 v[192:193], v[126:127], s[18:19], -v[210:211]
	v_add_f64 v[96:97], v[212:213], v[96:97]
	v_mul_f64 v[212:213], v[158:159], s[56:57]
	v_add_f64 v[100:101], v[192:193], v[100:101]
	v_fma_f64 v[214:215], v[128:129], s[22:23], -v[212:213]
	v_fma_f64 v[192:193], v[128:129], s[22:23], v[212:213]
	v_add_f64 v[98:99], v[214:215], v[98:99]
	v_mul_f64 v[214:215], v[156:157], s[56:57]
	v_add_f64 v[102:103], v[192:193], v[102:103]
	v_fma_f64 v[192:193], v[130:131], s[22:23], -v[214:215]
	v_fma_f64 v[216:217], v[130:131], s[22:23], v[214:215]
	v_add_f64 v[192:193], v[192:193], v[100:101]
	v_fma_f64 v[100:101], v[132:133], s[4:5], v[218:219]
	v_add_f64 v[216:217], v[216:217], v[96:97]
	v_fma_f64 v[96:97], v[132:133], s[4:5], -v[218:219]
	v_mul_f64 v[218:219], v[154:155], s[26:27]
	v_add_f64 v[100:101], v[100:101], v[102:103]
	v_add_f64 v[102:103], v[194:195], v[192:193]
	v_mul_f64 v[192:193], v[182:183], s[44:45]
	v_add_f64 v[96:97], v[96:97], v[98:99]
	v_fma_f64 v[98:99], v[134:135], s[4:5], v[220:221]
	v_mul_f64 v[220:221], v[152:153], s[26:27]
	v_fma_f64 v[194:195], v[148:149], s[18:19], -v[192:193]
	v_fma_f64 v[192:193], v[148:149], s[18:19], v[192:193]
	v_add_f64 v[98:99], v[98:99], v[216:217]
	v_add_f64 v[106:107], v[194:195], v[106:107]
	v_mul_f64 v[194:195], v[180:181], s[44:45]
	v_add_f64 v[110:111], v[192:193], v[110:111]
	v_fma_f64 v[196:197], v[150:151], s[18:19], v[194:195]
	v_fma_f64 v[192:193], v[150:151], s[18:19], -v[194:195]
	v_fma_f64 v[194:195], v[134:135], s[22:23], -v[220:221]
	v_add_f64 v[104:105], v[196:197], v[104:105]
	v_mul_f64 v[196:197], v[174:175], s[50:51]
	v_add_f64 v[108:109], v[192:193], v[108:109]
	v_fma_f64 v[198:199], v[144:145], s[4:5], -v[196:197]
	v_fma_f64 v[192:193], v[144:145], s[4:5], v[196:197]
	v_add_f64 v[106:107], v[198:199], v[106:107]
	v_mul_f64 v[198:199], v[172:173], s[50:51]
	v_add_f64 v[110:111], v[192:193], v[110:111]
	v_fma_f64 v[200:201], v[146:147], s[4:5], v[198:199]
	v_fma_f64 v[192:193], v[146:147], s[4:5], -v[198:199]
	v_add_f64 v[104:105], v[200:201], v[104:105]
	v_mul_f64 v[200:201], v[170:171], s[30:31]
	v_add_f64 v[108:109], v[192:193], v[108:109]
	v_fma_f64 v[202:203], v[140:141], s[12:13], -v[200:201]
	v_fma_f64 v[192:193], v[140:141], s[12:13], v[200:201]
	v_add_f64 v[106:107], v[202:203], v[106:107]
	v_mul_f64 v[202:203], v[168:169], s[30:31]
	v_add_f64 v[110:111], v[192:193], v[110:111]
	v_fma_f64 v[204:205], v[142:143], s[12:13], v[202:203]
	;; [unrolled: 10-line block ×4, first 2 shown]
	v_fma_f64 v[192:193], v[126:127], s[28:29], -v[210:211]
	v_add_f64 v[104:105], v[212:213], v[104:105]
	v_mul_f64 v[212:213], v[158:159], s[16:17]
	v_add_f64 v[108:109], v[192:193], v[108:109]
	v_fma_f64 v[214:215], v[128:129], s[0:1], -v[212:213]
	v_fma_f64 v[192:193], v[128:129], s[0:1], v[212:213]
	v_add_f64 v[106:107], v[214:215], v[106:107]
	v_mul_f64 v[214:215], v[156:157], s[16:17]
	v_add_f64 v[110:111], v[192:193], v[110:111]
	v_fma_f64 v[192:193], v[130:131], s[0:1], -v[214:215]
	v_fma_f64 v[216:217], v[130:131], s[0:1], v[214:215]
	v_add_f64 v[192:193], v[192:193], v[108:109]
	v_fma_f64 v[108:109], v[132:133], s[22:23], v[218:219]
	v_add_f64 v[216:217], v[216:217], v[104:105]
	v_fma_f64 v[104:105], v[132:133], s[22:23], -v[218:219]
	v_mul_f64 v[218:219], v[154:155], s[46:47]
	v_mul_f64 v[154:155], v[154:155], s[58:59]
	v_add_f64 v[108:109], v[108:109], v[110:111]
	v_add_f64 v[110:111], v[194:195], v[192:193]
	v_mul_f64 v[192:193], v[182:183], s[52:53]
	v_add_f64 v[104:105], v[104:105], v[106:107]
	v_fma_f64 v[106:107], v[134:135], s[22:23], v[220:221]
	v_mul_f64 v[220:221], v[152:153], s[46:47]
	v_mul_f64 v[152:153], v[152:153], s[58:59]
	v_fma_f64 v[194:195], v[148:149], s[40:41], -v[192:193]
	v_add_f64 v[106:107], v[106:107], v[216:217]
	v_add_f64 v[114:115], v[194:195], v[114:115]
	v_mul_f64 v[194:195], v[180:181], s[52:53]
	v_mul_f64 v[180:181], v[180:181], s[48:49]
	v_fma_f64 v[196:197], v[150:151], s[40:41], v[194:195]
	v_add_f64 v[112:113], v[196:197], v[112:113]
	v_mul_f64 v[196:197], v[174:175], s[16:17]
	v_mul_f64 v[174:175], v[174:175], s[24:25]
	v_fma_f64 v[198:199], v[144:145], s[0:1], -v[196:197]
	v_add_f64 v[114:115], v[198:199], v[114:115]
	v_mul_f64 v[198:199], v[172:173], s[16:17]
	v_mul_f64 v[172:173], v[172:173], s[24:25]
	v_fma_f64 v[200:201], v[146:147], s[0:1], v[198:199]
	v_add_f64 v[112:113], v[200:201], v[112:113]
	v_mul_f64 v[200:201], v[170:171], s[24:25]
	v_mul_f64 v[170:171], v[170:171], s[50:51]
	v_fma_f64 v[202:203], v[140:141], s[18:19], -v[200:201]
	v_add_f64 v[114:115], v[202:203], v[114:115]
	v_mul_f64 v[202:203], v[168:169], s[24:25]
	v_mul_f64 v[168:169], v[168:169], s[50:51]
	v_fma_f64 v[204:205], v[142:143], s[18:19], v[202:203]
	v_add_f64 v[112:113], v[204:205], v[112:113]
	v_mul_f64 v[204:205], v[166:167], s[58:59]
	v_mul_f64 v[166:167], v[166:167], s[26:27]
	v_fma_f64 v[206:207], v[136:137], s[28:29], -v[204:205]
	v_add_f64 v[114:115], v[206:207], v[114:115]
	v_mul_f64 v[206:207], v[160:161], s[58:59]
	v_mul_f64 v[160:161], v[160:161], s[26:27]
	v_fma_f64 v[208:209], v[138:139], s[28:29], v[206:207]
	v_add_f64 v[112:113], v[208:209], v[112:113]
	v_mul_f64 v[208:209], v[122:123], s[20:21]
	v_fma_f64 v[210:211], v[124:125], s[4:5], -v[208:209]
	v_add_f64 v[114:115], v[210:211], v[114:115]
	v_mul_f64 v[210:211], v[120:121], s[20:21]
	v_fma_f64 v[212:213], v[126:127], s[4:5], v[210:211]
	v_add_f64 v[112:113], v[212:213], v[112:113]
	v_mul_f64 v[212:213], v[158:159], s[42:43]
	v_mul_f64 v[158:159], v[158:159], s[38:39]
	v_fma_f64 v[214:215], v[128:129], s[34:35], -v[212:213]
	v_add_f64 v[114:115], v[214:215], v[114:115]
	v_mul_f64 v[214:215], v[156:157], s[42:43]
	v_mul_f64 v[156:157], v[156:157], s[38:39]
	v_fma_f64 v[216:217], v[130:131], s[34:35], v[214:215]
	v_add_f64 v[216:217], v[216:217], v[112:113]
	v_fma_f64 v[112:113], v[132:133], s[12:13], -v[218:219]
	v_add_f64 v[112:113], v[112:113], v[114:115]
	v_fma_f64 v[114:115], v[134:135], s[12:13], v[220:221]
	v_add_f64 v[114:115], v[114:115], v[216:217]
	v_mul_f64 v[216:217], v[182:183], s[46:47]
	v_mul_f64 v[182:183], v[182:183], s[48:49]
	v_fma_f64 v[222:223], v[148:149], s[12:13], -v[216:217]
	v_add_f64 v[118:119], v[222:223], v[118:119]
	v_fma_f64 v[222:223], v[150:151], s[12:13], v[227:228]
	v_add_f64 v[116:117], v[222:223], v[116:117]
	v_fma_f64 v[222:223], v[144:145], s[28:29], -v[229:230]
	v_add_f64 v[118:119], v[222:223], v[118:119]
	v_fma_f64 v[222:223], v[146:147], s[28:29], v[231:232]
	v_add_f64 v[116:117], v[222:223], v[116:117]
	;; [unrolled: 4-line block ×7, first 2 shown]
	v_fma_f64 v[222:223], v[148:149], s[0:1], -v[182:183]
	v_fma_f64 v[182:183], v[148:149], s[0:1], v[182:183]
	v_add_f64 v[190:191], v[222:223], v[190:191]
	v_fma_f64 v[222:223], v[150:151], s[0:1], v[180:181]
	v_fma_f64 v[180:181], v[150:151], s[0:1], -v[180:181]
	v_add_f64 v[182:183], v[182:183], v[186:187]
	v_add_f64 v[186:187], v[62:63], -v[6:7]
	v_add_f64 v[188:189], v[222:223], v[188:189]
	v_fma_f64 v[222:223], v[144:145], s[18:19], -v[174:175]
	v_add_f64 v[180:181], v[180:181], v[184:185]
	v_fma_f64 v[174:175], v[144:145], s[18:19], v[174:175]
	v_add_f64 v[184:185], v[46:47], v[14:15]
	v_add_f64 v[190:191], v[222:223], v[190:191]
	v_fma_f64 v[222:223], v[146:147], s[18:19], v[172:173]
	v_fma_f64 v[172:173], v[146:147], s[18:19], -v[172:173]
	v_add_f64 v[174:175], v[174:175], v[182:183]
	v_add_f64 v[182:183], v[54:55], -v[10:11]
	v_add_f64 v[188:189], v[222:223], v[188:189]
	v_fma_f64 v[222:223], v[140:141], s[4:5], -v[170:171]
	v_add_f64 v[172:173], v[172:173], v[180:181]
	v_fma_f64 v[170:171], v[140:141], s[4:5], v[170:171]
	v_add_f64 v[180:181], v[52:53], v[8:9]
	v_add_f64 v[190:191], v[222:223], v[190:191]
	v_fma_f64 v[222:223], v[142:143], s[4:5], v[168:169]
	v_fma_f64 v[168:169], v[142:143], s[4:5], -v[168:169]
	v_add_f64 v[170:171], v[170:171], v[174:175]
	v_add_f64 v[174:175], v[60:61], v[4:5]
	;; [unrolled: 1-line block ×3, first 2 shown]
	v_fma_f64 v[222:223], v[136:137], s[22:23], -v[166:167]
	v_add_f64 v[168:169], v[168:169], v[172:173]
	v_fma_f64 v[166:167], v[136:137], s[22:23], v[166:167]
	v_add_f64 v[190:191], v[222:223], v[190:191]
	v_fma_f64 v[222:223], v[138:139], s[22:23], v[160:161]
	v_fma_f64 v[160:161], v[138:139], s[22:23], -v[160:161]
	v_add_f64 v[166:167], v[166:167], v[170:171]
	v_add_f64 v[170:171], v[38:39], v[18:19]
	;; [unrolled: 1-line block ×3, first 2 shown]
	v_mul_f64 v[222:223], v[122:123], s[46:47]
	v_add_f64 v[160:161], v[160:161], v[168:169]
	v_fma_f64 v[122:123], v[124:125], s[12:13], -v[222:223]
	v_fma_f64 v[168:169], v[124:125], s[12:13], v[222:223]
	v_mov_b32_e32 v222, 4
	v_add_f64 v[122:123], v[122:123], v[190:191]
	v_mul_f64 v[190:191], v[120:121], s[46:47]
	v_add_f64 v[166:167], v[168:169], v[166:167]
	v_fma_f64 v[120:121], v[126:127], s[12:13], v[190:191]
	v_fma_f64 v[168:169], v[126:127], s[12:13], -v[190:191]
	v_add_f64 v[190:191], v[52:53], -v[8:9]
	v_add_f64 v[120:121], v[120:121], v[188:189]
	v_fma_f64 v[188:189], v[128:129], s[40:41], -v[158:159]
	v_add_f64 v[160:161], v[168:169], v[160:161]
	v_fma_f64 v[158:159], v[128:129], s[40:41], v[158:159]
	v_add_f64 v[122:123], v[188:189], v[122:123]
	v_fma_f64 v[188:189], v[130:131], s[40:41], v[156:157]
	v_fma_f64 v[156:157], v[130:131], s[40:41], -v[156:157]
	v_add_f64 v[158:159], v[158:159], v[166:167]
	v_add_f64 v[166:167], v[46:47], -v[14:15]
	v_add_f64 v[188:189], v[188:189], v[120:121]
	v_fma_f64 v[120:121], v[132:133], s[28:29], -v[154:155]
	v_add_f64 v[156:157], v[156:157], v[160:161]
	v_fma_f64 v[154:155], v[132:133], s[28:29], v[154:155]
	v_add_f64 v[120:121], v[120:121], v[122:123]
	v_fma_f64 v[122:123], v[134:135], s[28:29], v[152:153]
	v_fma_f64 v[152:153], v[134:135], s[28:29], -v[152:153]
	v_add_f64 v[223:224], v[154:155], v[158:159]
	v_fma_f64 v[154:155], v[150:151], s[12:13], -v[227:228]
	v_fma_f64 v[150:151], v[150:151], s[40:41], -v[194:195]
	v_add_f64 v[194:195], v[54:55], v[10:11]
	v_fma_f64 v[158:159], v[134:135], s[40:41], -v[253:254]
	v_add_f64 v[122:123], v[122:123], v[188:189]
	v_add_f64 v[225:226], v[152:153], v[156:157]
	v_fma_f64 v[152:153], v[148:149], s[12:13], v[216:217]
	v_fma_f64 v[156:157], v[144:145], s[28:29], v[229:230]
	v_add_f64 v[154:155], v[154:155], v[176:177]
	v_fma_f64 v[148:149], v[148:149], s[40:41], v[192:193]
	v_fma_f64 v[144:145], v[144:145], s[0:1], v[196:197]
	v_add_f64 v[150:151], v[150:151], v[164:165]
	v_mul_f64 v[196:197], v[186:187], s[20:21]
	v_add_f64 v[216:217], v[66:67], v[2:3]
	v_mul_f64 v[192:193], v[182:183], s[30:31]
	;; [unrolled: 2-line block ×3, first 2 shown]
	v_add_f64 v[176:177], v[44:45], -v[12:13]
	v_add_f64 v[152:153], v[152:153], v[178:179]
	v_add_f64 v[148:149], v[148:149], v[162:163]
	v_add_f64 v[162:163], v[36:37], -v[16:17]
	v_add_f64 v[152:153], v[156:157], v[152:153]
	v_fma_f64 v[156:157], v[146:147], s[28:29], -v[231:232]
	v_fma_f64 v[146:147], v[146:147], s[0:1], -v[198:199]
	v_add_f64 v[144:145], v[144:145], v[148:149]
	v_mul_f64 v[198:199], v[176:177], s[36:37]
	v_mul_f64 v[178:179], v[162:163], s[38:39]
	v_add_f64 v[148:149], v[32:33], -v[24:25]
	v_add_f64 v[154:155], v[156:157], v[154:155]
	v_fma_f64 v[156:157], v[140:141], s[22:23], v[233:234]
	v_fma_f64 v[140:141], v[140:141], s[18:19], v[200:201]
	v_add_f64 v[146:147], v[146:147], v[150:151]
	v_add_f64 v[200:201], v[60:61], -v[4:5]
	v_mul_f64 v[172:173], v[148:149], s[26:27]
	v_add_f64 v[152:153], v[156:157], v[152:153]
	v_fma_f64 v[156:157], v[142:143], s[22:23], -v[235:236]
	v_fma_f64 v[142:143], v[142:143], s[18:19], -v[202:203]
	v_add_f64 v[140:141], v[140:141], v[144:145]
	v_mul_f64 v[202:203], v[190:191], s[30:31]
	v_add_f64 v[144:145], v[34:35], -v[26:27]
	v_add_f64 v[154:155], v[156:157], v[154:155]
	v_fma_f64 v[156:157], v[136:137], s[0:1], v[237:238]
	v_fma_f64 v[136:137], v[136:137], s[28:29], v[204:205]
	v_add_f64 v[142:143], v[142:143], v[146:147]
	v_add_f64 v[204:205], v[62:63], v[6:7]
	v_mul_f64 v[160:161], v[144:145], s[26:27]
	v_add_f64 v[146:147], v[42:43], v[30:31]
	v_add_f64 v[152:153], v[156:157], v[152:153]
	v_fma_f64 v[156:157], v[138:139], s[0:1], -v[239:240]
	v_fma_f64 v[138:139], v[138:139], s[28:29], -v[206:207]
	v_add_f64 v[136:137], v[136:137], v[140:141]
	v_mul_f64 v[206:207], v[200:201], s[20:21]
	v_add_f64 v[154:155], v[156:157], v[154:155]
	v_fma_f64 v[156:157], v[124:125], s[34:35], v[241:242]
	v_fma_f64 v[124:125], v[124:125], s[4:5], v[208:209]
	v_add_f64 v[138:139], v[138:139], v[142:143]
	v_add_f64 v[208:209], v[64:65], v[0:1]
	;; [unrolled: 1-line block ×4, first 2 shown]
	v_fma_f64 v[156:157], v[126:127], s[34:35], -v[245:246]
	v_fma_f64 v[126:127], v[126:127], s[4:5], -v[210:211]
	v_add_f64 v[124:125], v[124:125], v[136:137]
	v_add_f64 v[154:155], v[156:157], v[154:155]
	v_fma_f64 v[156:157], v[128:129], s[4:5], v[247:248]
	v_fma_f64 v[128:129], v[128:129], s[34:35], v[212:213]
	v_add_f64 v[212:213], v[66:67], -v[2:3]
	v_add_f64 v[126:127], v[126:127], v[138:139]
	v_add_f64 v[138:139], v[42:43], -v[30:31]
	v_add_f64 v[152:153], v[156:157], v[152:153]
	v_fma_f64 v[156:157], v[130:131], s[4:5], -v[249:250]
	v_fma_f64 v[130:131], v[130:131], s[34:35], -v[214:215]
	v_add_f64 v[124:125], v[128:129], v[124:125]
	v_fma_f64 v[128:129], v[132:133], s[12:13], v[218:219]
	v_mul_f64 v[210:211], v[212:213], s[16:17]
	v_add_f64 v[214:215], v[64:65], -v[0:1]
	v_mul_f64 v[150:151], v[138:139], s[24:25]
	v_add_f64 v[154:155], v[156:157], v[154:155]
	v_add_f64 v[126:127], v[130:131], v[126:127]
	v_fma_f64 v[130:131], v[134:135], s[12:13], -v[220:221]
	v_add_f64 v[231:232], v[128:129], v[124:125]
	v_fma_f64 v[124:125], v[208:209], s[0:1], v[210:211]
	v_mul_f64 v[218:219], v[214:215], s[16:17]
	v_fma_f64 v[128:129], v[204:205], s[4:5], -v[206:207]
	v_fma_f64 v[156:157], v[132:133], s[40:41], v[251:252]
	v_add_f64 v[134:135], v[40:41], -v[28:29]
	v_add_f64 v[229:230], v[158:159], v[154:155]
	v_add_f64 v[154:155], v[38:39], -v[18:19]
	v_add_f64 v[233:234], v[130:131], v[126:127]
	v_fma_f64 v[126:127], v[174:175], s[4:5], v[196:197]
	v_add_f64 v[124:125], v[20:21], v[124:125]
	v_add_f64 v[130:131], v[40:41], v[28:29]
	;; [unrolled: 1-line block ×5, first 2 shown]
	v_mul_f64 v[158:159], v[134:135], s[24:25]
	v_mul_f64 v[168:169], v[154:155], s[38:39]
	v_add_f64 v[124:125], v[126:127], v[124:125]
	v_fma_f64 v[126:127], v[216:217], s[0:1], -v[218:219]
	v_add_f64 v[126:127], v[22:23], v[126:127]
	v_add_f64 v[126:127], v[128:129], v[126:127]
	v_fma_f64 v[128:129], v[180:181], s[12:13], v[192:193]
	v_add_f64 v[124:125], v[128:129], v[124:125]
	v_fma_f64 v[128:129], v[194:195], s[12:13], -v[202:203]
	v_add_f64 v[126:127], v[128:129], v[126:127]
	v_fma_f64 v[128:129], v[164:165], s[28:29], v[188:189]
	v_add_f64 v[124:125], v[128:129], v[124:125]
	v_fma_f64 v[128:129], v[184:185], s[28:29], -v[198:199]
	;; [unrolled: 4-line block ×5, first 2 shown]
	v_add_f64 v[128:129], v[50:51], -v[58:59]
	v_add_f64 v[220:221], v[124:125], v[126:127]
	v_add_f64 v[124:125], v[48:49], v[56:57]
	v_mul_f64 v[132:133], v[128:129], s[42:43]
	v_fma_f64 v[126:127], v[124:125], s[34:35], v[132:133]
	v_add_f64 v[237:238], v[126:127], v[136:137]
	v_add_f64 v[126:127], v[48:49], -v[56:57]
	v_add_f64 v[136:137], v[50:51], v[58:59]
	v_mul_f64 v[140:141], v[126:127], s[42:43]
	v_fma_f64 v[235:236], v[136:137], s[34:35], -v[140:141]
	v_add_f64 v[239:240], v[235:236], v[220:221]
	v_mul_lo_u16 v220, v243, 17
	buffer_store_dword v237, off, s[60:63], 0 offset:4 ; 4-byte Folded Spill
	buffer_store_dword v238, off, s[60:63], 0 offset:8 ; 4-byte Folded Spill
	;; [unrolled: 1-line block ×4, first 2 shown]
	v_lshlrev_b32_sdwa v254, v222, v220 dst_sel:DWORD dst_unused:UNUSED_PAD src0_sel:DWORD src1_sel:WORD_0
	s_waitcnt_vscnt null, 0x0
	s_barrier
	buffer_gl0_inv
	ds_write_b128 v254, v[72:75]
	ds_write_b128 v254, v[76:79] offset:16
	ds_write_b128 v254, v[84:87] offset:32
	ds_write_b128 v254, v[92:95] offset:48
	ds_write_b128 v254, v[96:99] offset:64
	ds_write_b128 v254, v[104:107] offset:80
	ds_write_b128 v254, v[112:115] offset:96
	ds_write_b128 v254, v[116:119] offset:112
	ds_write_b128 v254, v[120:123] offset:128
	ds_write_b128 v254, v[223:226] offset:144
	ds_write_b128 v254, v[227:230] offset:160
	ds_write_b128 v254, v[231:234] offset:176
	ds_write_b128 v254, v[108:111] offset:192
	ds_write_b128 v254, v[100:103] offset:208
	ds_write_b128 v254, v[88:91] offset:224
	ds_write_b128 v254, v[80:83] offset:240
	ds_write_b128 v254, v[68:71] offset:256
	v_add_co_u32 v227, s33, v243, 51
	v_add_co_ci_u32_e64 v68, null, 0, 0, s33
	s_and_saveexec_b32 s33, vcc_lo
	s_cbranch_execz .LBB0_7
; %bb.6:
	v_add_f64 v[66:67], v[22:23], v[66:67]
	v_add_f64 v[64:65], v[20:21], v[64:65]
	;; [unrolled: 1-line block ×4, first 2 shown]
	v_mul_f64 v[64:65], v[212:213], s[20:21]
	v_add_f64 v[54:55], v[62:63], v[54:55]
	v_add_f64 v[52:53], v[60:61], v[52:53]
	v_mul_f64 v[60:61], v[212:213], s[36:37]
	v_mul_f64 v[62:63], v[212:213], s[30:31]
	v_fma_f64 v[96:97], v[208:209], s[4:5], v[64:65]
	v_fma_f64 v[98:99], v[208:209], s[4:5], -v[64:65]
	v_add_f64 v[46:47], v[54:55], v[46:47]
	v_add_f64 v[44:45], v[52:53], v[44:45]
	v_mul_f64 v[52:53], v[216:217], s[12:13]
	v_mul_f64 v[54:55], v[212:213], s[24:25]
	v_fma_f64 v[88:89], v[208:209], s[28:29], v[60:61]
	v_fma_f64 v[90:91], v[208:209], s[28:29], -v[60:61]
	v_mul_f64 v[60:61], v[208:209], s[0:1]
	v_fma_f64 v[92:93], v[208:209], s[12:13], v[62:63]
	v_fma_f64 v[94:95], v[208:209], s[12:13], -v[62:63]
	v_add_f64 v[38:39], v[46:47], v[38:39]
	v_add_f64 v[36:37], v[44:45], v[36:37]
	v_fma_f64 v[76:77], v[214:215], s[46:47], v[52:53]
	v_fma_f64 v[78:79], v[214:215], s[30:31], v[52:53]
	v_mul_f64 v[52:53], v[216:217], s[4:5]
	v_mul_f64 v[44:45], v[216:217], s[40:41]
	v_fma_f64 v[68:69], v[208:209], s[18:19], v[54:55]
	v_fma_f64 v[54:55], v[208:209], s[18:19], -v[54:55]
	v_add_f64 v[100:101], v[60:61], -v[210:211]
	v_add_f64 v[60:61], v[20:21], v[88:89]
	v_add_f64 v[34:35], v[38:39], v[34:35]
	;; [unrolled: 1-line block ×3, first 2 shown]
	v_mul_f64 v[36:37], v[216:217], s[18:19]
	v_fma_f64 v[80:81], v[214:215], s[50:51], v[52:53]
	v_fma_f64 v[82:83], v[214:215], s[20:21], v[52:53]
	v_mul_f64 v[52:53], v[216:217], s[0:1]
	v_fma_f64 v[46:47], v[214:215], s[52:53], v[44:45]
	v_add_f64 v[112:113], v[20:21], v[68:69]
	v_add_f64 v[116:117], v[20:21], v[54:55]
	v_fma_f64 v[44:45], v[214:215], s[38:39], v[44:45]
	v_add_f64 v[34:35], v[34:35], v[42:43]
	v_add_f64 v[32:33], v[32:33], v[40:41]
	v_mul_f64 v[40:41], v[216:217], s[22:23]
	v_fma_f64 v[38:39], v[214:215], s[44:45], v[36:37]
	v_fma_f64 v[36:37], v[214:215], s[24:25], v[36:37]
	v_add_f64 v[84:85], v[218:219], v[52:53]
	v_mul_f64 v[52:53], v[212:213], s[42:43]
	v_add_f64 v[34:35], v[34:35], v[50:51]
	v_add_f64 v[32:33], v[32:33], v[48:49]
	v_mul_f64 v[48:49], v[216:217], s[28:29]
	v_fma_f64 v[42:43], v[214:215], s[56:57], v[40:41]
	v_fma_f64 v[40:41], v[214:215], s[26:27], v[40:41]
	v_add_f64 v[110:111], v[22:23], v[38:39]
	v_add_f64 v[114:115], v[22:23], v[36:37]
	v_fma_f64 v[66:67], v[208:209], s[34:35], v[52:53]
	v_fma_f64 v[52:53], v[208:209], s[34:35], -v[52:53]
	v_add_f64 v[36:37], v[20:21], v[92:93]
	v_add_f64 v[38:39], v[20:21], v[94:95]
	;; [unrolled: 1-line block ×4, first 2 shown]
	v_mul_f64 v[32:33], v[216:217], s[34:35]
	v_mul_f64 v[56:57], v[212:213], s[26:27]
	;; [unrolled: 1-line block ×3, first 2 shown]
	v_fma_f64 v[50:51], v[214:215], s[58:59], v[48:49]
	v_fma_f64 v[48:49], v[214:215], s[36:37], v[48:49]
	v_add_f64 v[104:105], v[20:21], v[66:67]
	v_add_f64 v[108:109], v[20:21], v[52:53]
	;; [unrolled: 1-line block ×7, first 2 shown]
	v_mul_f64 v[98:99], v[136:137], s[28:29]
	v_add_f64 v[30:31], v[72:73], v[30:31]
	v_mul_f64 v[72:73], v[204:205], s[0:1]
	v_fma_f64 v[34:35], v[214:215], s[54:55], v[32:33]
	v_fma_f64 v[32:33], v[214:215], s[42:43], v[32:33]
	;; [unrolled: 1-line block ×3, first 2 shown]
	v_fma_f64 v[56:57], v[208:209], s[22:23], -v[56:57]
	v_fma_f64 v[86:87], v[208:209], s[40:41], v[58:59]
	v_fma_f64 v[58:59], v[208:209], s[40:41], -v[58:59]
	v_add_f64 v[62:63], v[22:23], v[50:51]
	v_add_f64 v[50:51], v[22:23], v[76:77]
	v_mul_f64 v[76:77], v[194:195], s[18:19]
	v_add_f64 v[28:29], v[74:75], v[28:29]
	v_mul_f64 v[74:75], v[186:187], s[48:49]
	v_add_f64 v[30:31], v[30:31], v[26:27]
	v_add_f64 v[102:103], v[22:23], v[34:35]
	;; [unrolled: 1-line block ×10, first 2 shown]
	v_fma_f64 v[20:21], v[200:201], s[16:17], v[72:73]
	v_add_f64 v[58:59], v[22:23], v[48:49]
	v_add_f64 v[48:49], v[22:23], v[78:79]
	v_fma_f64 v[78:79], v[190:191], s[44:45], v[76:77]
	v_add_f64 v[56:57], v[22:23], v[44:45]
	v_add_f64 v[34:35], v[22:23], v[80:81]
	;; [unrolled: 1-line block ×3, first 2 shown]
	v_fma_f64 v[22:23], v[174:175], s[0:1], v[74:75]
	v_add_f64 v[28:29], v[28:29], v[24:25]
	v_fma_f64 v[24:25], v[200:201], s[48:49], v[72:73]
	v_fma_f64 v[26:27], v[174:175], s[0:1], -v[74:75]
	v_fma_f64 v[72:73], v[190:191], s[24:25], v[76:77]
	v_mul_f64 v[100:101], v[128:129], s[58:59]
	v_mul_f64 v[76:77], v[194:195], s[28:29]
	v_add_f64 v[30:31], v[30:31], v[18:19]
	v_add_f64 v[20:21], v[20:21], v[102:103]
	v_mul_f64 v[102:103], v[136:137], s[0:1]
	v_add_f64 v[22:23], v[22:23], v[104:105]
	v_add_f64 v[28:29], v[28:29], v[16:17]
	;; [unrolled: 1-line block ×4, first 2 shown]
	v_mul_f64 v[104:105], v[128:129], s[50:51]
	v_fma_f64 v[74:75], v[124:125], s[28:29], -v[100:101]
	v_mul_f64 v[106:107], v[128:129], s[26:27]
	v_add_f64 v[30:31], v[30:31], v[14:15]
	v_add_f64 v[20:21], v[78:79], v[20:21]
	v_mul_f64 v[78:79], v[182:183], s[24:25]
	v_add_f64 v[28:29], v[28:29], v[12:13]
	v_add_f64 v[24:25], v[72:73], v[24:25]
	v_fma_f64 v[80:81], v[180:181], s[18:19], v[78:79]
	v_fma_f64 v[72:73], v[180:181], s[18:19], -v[78:79]
	v_fma_f64 v[78:79], v[190:191], s[58:59], v[76:77]
	v_add_f64 v[22:23], v[80:81], v[22:23]
	v_mul_f64 v[80:81], v[184:185], s[4:5]
	v_add_f64 v[26:27], v[72:73], v[26:27]
	v_fma_f64 v[82:83], v[176:177], s[20:21], v[80:81]
	v_fma_f64 v[72:73], v[176:177], s[50:51], v[80:81]
	v_add_f64 v[20:21], v[82:83], v[20:21]
	v_mul_f64 v[82:83], v[166:167], s[50:51]
	v_add_f64 v[24:25], v[72:73], v[24:25]
	v_fma_f64 v[84:85], v[164:165], s[4:5], v[82:83]
	v_fma_f64 v[72:73], v[164:165], s[4:5], -v[82:83]
	v_add_f64 v[22:23], v[84:85], v[22:23]
	v_mul_f64 v[84:85], v[170:171], s[22:23]
	v_add_f64 v[26:27], v[72:73], v[26:27]
	v_fma_f64 v[86:87], v[162:163], s[56:57], v[84:85]
	v_fma_f64 v[72:73], v[162:163], s[26:27], v[84:85]
	v_add_f64 v[20:21], v[86:87], v[20:21]
	v_mul_f64 v[86:87], v[154:155], s[26:27]
	v_add_f64 v[24:25], v[72:73], v[24:25]
	v_fma_f64 v[88:89], v[152:153], s[22:23], v[86:87]
	v_fma_f64 v[72:73], v[152:153], s[22:23], -v[86:87]
	v_add_f64 v[22:23], v[88:89], v[22:23]
	v_mul_f64 v[88:89], v[156:157], s[12:13]
	v_add_f64 v[26:27], v[72:73], v[26:27]
	v_fma_f64 v[90:91], v[148:149], s[30:31], v[88:89]
	v_fma_f64 v[72:73], v[148:149], s[46:47], v[88:89]
	v_add_f64 v[20:21], v[90:91], v[20:21]
	v_mul_f64 v[90:91], v[144:145], s[46:47]
	v_add_f64 v[24:25], v[72:73], v[24:25]
	v_fma_f64 v[92:93], v[142:143], s[12:13], v[90:91]
	v_fma_f64 v[72:73], v[142:143], s[12:13], -v[90:91]
	v_add_f64 v[22:23], v[92:93], v[22:23]
	v_mul_f64 v[92:93], v[146:147], s[40:41]
	v_add_f64 v[26:27], v[72:73], v[26:27]
	v_fma_f64 v[94:95], v[134:135], s[52:53], v[92:93]
	v_fma_f64 v[72:73], v[134:135], s[38:39], v[92:93]
	v_add_f64 v[20:21], v[94:95], v[20:21]
	v_mul_f64 v[94:95], v[138:139], s[38:39]
	v_add_f64 v[24:25], v[72:73], v[24:25]
	v_fma_f64 v[72:73], v[130:131], s[40:41], -v[94:95]
	v_fma_f64 v[96:97], v[130:131], s[40:41], v[94:95]
	v_add_f64 v[72:73], v[72:73], v[26:27]
	v_fma_f64 v[26:27], v[126:127], s[58:59], v[98:99]
	v_add_f64 v[96:97], v[96:97], v[22:23]
	v_fma_f64 v[22:23], v[126:127], s[36:37], v[98:99]
	v_mul_f64 v[98:99], v[136:137], s[40:41]
	v_add_f64 v[26:27], v[26:27], v[24:25]
	v_add_f64 v[24:25], v[74:75], v[72:73]
	v_mul_f64 v[72:73], v[204:205], s[12:13]
	v_mul_f64 v[74:75], v[186:187], s[46:47]
	v_add_f64 v[22:23], v[22:23], v[20:21]
	v_fma_f64 v[20:21], v[124:125], s[28:29], v[100:101]
	v_mul_f64 v[100:101], v[128:129], s[38:39]
	v_fma_f64 v[16:17], v[200:201], s[30:31], v[72:73]
	v_fma_f64 v[18:19], v[174:175], s[12:13], v[74:75]
	;; [unrolled: 1-line block ×3, first 2 shown]
	v_fma_f64 v[14:15], v[174:175], s[12:13], -v[74:75]
	v_fma_f64 v[72:73], v[190:191], s[36:37], v[76:77]
	v_fma_f64 v[74:75], v[124:125], s[40:41], -v[100:101]
	v_mul_f64 v[76:77], v[204:205], s[40:41]
	v_add_f64 v[20:21], v[20:21], v[96:97]
	v_add_f64 v[16:17], v[16:17], v[110:111]
	;; [unrolled: 1-line block ×5, first 2 shown]
	v_fma_f64 v[112:113], v[124:125], s[22:23], -v[106:107]
	v_fma_f64 v[106:107], v[124:125], s[22:23], v[106:107]
	v_add_f64 v[16:17], v[78:79], v[16:17]
	v_mul_f64 v[78:79], v[182:183], s[36:37]
	v_add_f64 v[12:13], v[72:73], v[12:13]
	v_fma_f64 v[80:81], v[180:181], s[28:29], v[78:79]
	v_fma_f64 v[72:73], v[180:181], s[28:29], -v[78:79]
	v_mul_f64 v[78:79], v[186:187], s[52:53]
	v_add_f64 v[18:19], v[80:81], v[18:19]
	v_mul_f64 v[80:81], v[184:185], s[22:23]
	v_add_f64 v[14:15], v[72:73], v[14:15]
	v_fma_f64 v[82:83], v[176:177], s[26:27], v[80:81]
	v_fma_f64 v[72:73], v[176:177], s[56:57], v[80:81]
	v_mul_f64 v[80:81], v[194:195], s[0:1]
	v_add_f64 v[16:17], v[82:83], v[16:17]
	v_mul_f64 v[82:83], v[166:167], s[56:57]
	v_add_f64 v[12:13], v[72:73], v[12:13]
	v_fma_f64 v[84:85], v[164:165], s[22:23], v[82:83]
	v_fma_f64 v[72:73], v[164:165], s[22:23], -v[82:83]
	v_mul_f64 v[82:83], v[182:183], s[16:17]
	v_add_f64 v[18:19], v[84:85], v[18:19]
	v_mul_f64 v[84:85], v[170:171], s[0:1]
	v_add_f64 v[14:15], v[72:73], v[14:15]
	v_fma_f64 v[86:87], v[162:163], s[48:49], v[84:85]
	v_fma_f64 v[72:73], v[162:163], s[16:17], v[84:85]
	v_mul_f64 v[84:85], v[184:185], s[18:19]
	;; [unrolled: 12-line block ×4, first 2 shown]
	v_add_f64 v[16:17], v[94:95], v[16:17]
	v_mul_f64 v[94:95], v[138:139], s[50:51]
	v_add_f64 v[12:13], v[72:73], v[12:13]
	v_fma_f64 v[72:73], v[130:131], s[4:5], -v[94:95]
	v_fma_f64 v[96:97], v[130:131], s[4:5], v[94:95]
	v_mul_f64 v[94:95], v[144:145], s[20:21]
	v_add_f64 v[72:73], v[72:73], v[14:15]
	v_fma_f64 v[14:15], v[126:127], s[38:39], v[98:99]
	v_add_f64 v[96:97], v[96:97], v[18:19]
	v_fma_f64 v[18:19], v[126:127], s[52:53], v[98:99]
	v_mul_f64 v[98:99], v[138:139], s[42:43]
	v_add_f64 v[14:15], v[14:15], v[12:13]
	v_add_f64 v[12:13], v[74:75], v[72:73]
	;; [unrolled: 1-line block ×4, first 2 shown]
	v_fma_f64 v[8:9], v[200:201], s[38:39], v[76:77]
	v_fma_f64 v[10:11], v[174:175], s[40:41], v[78:79]
	v_add_f64 v[18:19], v[18:19], v[16:17]
	v_fma_f64 v[16:17], v[124:125], s[40:41], v[100:101]
	v_fma_f64 v[28:29], v[190:191], s[48:49], v[80:81]
	v_mul_f64 v[30:31], v[136:137], s[12:13]
	v_add_f64 v[6:7], v[72:73], v[6:7]
	v_fma_f64 v[72:73], v[200:201], s[52:53], v[76:77]
	v_add_f64 v[4:5], v[74:75], v[4:5]
	v_add_f64 v[8:9], v[8:9], v[118:119]
	;; [unrolled: 1-line block ×4, first 2 shown]
	v_mul_f64 v[96:97], v[146:147], s[34:35]
	v_add_f64 v[2:3], v[6:7], v[2:3]
	v_add_f64 v[70:71], v[72:73], v[70:71]
	v_fma_f64 v[72:73], v[174:175], s[40:41], -v[78:79]
	v_add_f64 v[8:9], v[28:29], v[8:9]
	v_fma_f64 v[28:29], v[180:181], s[0:1], v[82:83]
	v_add_f64 v[0:1], v[4:5], v[0:1]
	v_add_f64 v[68:69], v[72:73], v[68:69]
	v_mul_f64 v[72:73], v[204:205], s[18:19]
	v_add_f64 v[10:11], v[28:29], v[10:11]
	v_fma_f64 v[28:29], v[176:177], s[44:45], v[84:85]
	v_fma_f64 v[74:75], v[200:201], s[24:25], v[72:73]
	;; [unrolled: 1-line block ×3, first 2 shown]
	v_add_f64 v[8:9], v[28:29], v[8:9]
	v_fma_f64 v[28:29], v[164:165], s[18:19], v[86:87]
	v_add_f64 v[66:67], v[74:75], v[66:67]
	v_fma_f64 v[74:75], v[190:191], s[16:17], v[80:81]
	;; [unrolled: 2-line block ×4, first 2 shown]
	v_add_f64 v[70:71], v[74:75], v[70:71]
	v_fma_f64 v[74:75], v[180:181], s[0:1], -v[82:83]
	v_add_f64 v[8:9], v[28:29], v[8:9]
	v_fma_f64 v[28:29], v[152:153], s[28:29], v[90:91]
	v_add_f64 v[68:69], v[74:75], v[68:69]
	v_mul_f64 v[74:75], v[194:195], s[4:5]
	v_add_f64 v[10:11], v[28:29], v[10:11]
	v_fma_f64 v[28:29], v[148:149], s[50:51], v[92:93]
	v_fma_f64 v[76:77], v[190:191], s[20:21], v[74:75]
	v_add_f64 v[8:9], v[28:29], v[8:9]
	v_fma_f64 v[28:29], v[142:143], s[4:5], v[94:95]
	v_add_f64 v[66:67], v[76:77], v[66:67]
	;; [unrolled: 2-line block ×4, first 2 shown]
	v_fma_f64 v[76:77], v[164:165], s[18:19], -v[86:87]
	v_add_f64 v[8:9], v[28:29], v[8:9]
	v_fma_f64 v[28:29], v[130:131], s[34:35], v[98:99]
	v_add_f64 v[68:69], v[76:77], v[68:69]
	v_fma_f64 v[76:77], v[162:163], s[58:59], v[88:89]
	v_mul_f64 v[88:89], v[186:187], s[26:27]
	v_add_f64 v[100:101], v[28:29], v[10:11]
	v_fma_f64 v[10:11], v[126:127], s[30:31], v[30:31]
	v_mul_f64 v[28:29], v[128:129], s[46:47]
	v_fma_f64 v[30:31], v[126:127], s[46:47], v[30:31]
	v_add_f64 v[70:71], v[76:77], v[70:71]
	v_mul_f64 v[76:77], v[186:187], s[44:45]
	v_add_f64 v[10:11], v[10:11], v[8:9]
	v_fma_f64 v[8:9], v[124:125], s[12:13], v[28:29]
	v_fma_f64 v[28:29], v[124:125], s[12:13], -v[28:29]
	v_fma_f64 v[78:79], v[174:175], s[18:19], v[76:77]
	v_add_f64 v[8:9], v[8:9], v[100:101]
	v_mul_f64 v[100:101], v[136:137], s[4:5]
	v_add_f64 v[64:65], v[78:79], v[64:65]
	v_fma_f64 v[78:79], v[152:153], s[28:29], -v[90:91]
	v_mul_f64 v[90:91], v[186:187], s[36:37]
	v_add_f64 v[68:69], v[78:79], v[68:69]
	v_fma_f64 v[78:79], v[148:149], s[20:21], v[92:93]
	v_fma_f64 v[92:93], v[174:175], s[22:23], -v[88:89]
	v_fma_f64 v[88:89], v[174:175], s[22:23], v[88:89]
	v_add_f64 v[70:71], v[78:79], v[70:71]
	v_mul_f64 v[78:79], v[184:185], s[12:13]
	v_add_f64 v[38:39], v[92:93], v[38:39]
	v_add_f64 v[36:37], v[88:89], v[36:37]
	v_mul_f64 v[88:89], v[182:183], s[26:27]
	v_add_f64 v[56:57], v[56:57], v[70:71]
	v_fma_f64 v[80:81], v[176:177], s[46:47], v[78:79]
	v_fma_f64 v[70:71], v[174:175], s[18:19], -v[76:77]
	v_mul_f64 v[76:77], v[170:171], s[34:35]
	v_fma_f64 v[78:79], v[176:177], s[30:31], v[78:79]
	v_add_f64 v[30:31], v[30:31], v[56:57]
	v_add_f64 v[66:67], v[80:81], v[66:67]
	v_mul_f64 v[80:81], v[182:183], s[50:51]
	v_add_f64 v[70:71], v[70:71], v[54:55]
	v_fma_f64 v[54:55], v[162:163], s[54:55], v[76:77]
	v_fma_f64 v[82:83], v[180:181], s[4:5], v[80:81]
	v_add_f64 v[66:67], v[54:55], v[66:67]
	v_add_f64 v[64:65], v[82:83], v[64:65]
	v_fma_f64 v[82:83], v[142:143], s[4:5], -v[94:95]
	v_fma_f64 v[94:95], v[174:175], s[28:29], -v[90:91]
	v_fma_f64 v[90:91], v[174:175], s[28:29], v[90:91]
	v_add_f64 v[68:69], v[82:83], v[68:69]
	v_mul_f64 v[82:83], v[166:167], s[30:31]
	v_add_f64 v[46:47], v[94:95], v[46:47]
	v_fma_f64 v[94:95], v[180:181], s[22:23], -v[88:89]
	v_fma_f64 v[88:89], v[180:181], s[22:23], v[88:89]
	v_add_f64 v[32:33], v[90:91], v[32:33]
	v_fma_f64 v[54:55], v[164:165], s[12:13], v[82:83]
	v_add_f64 v[46:47], v[94:95], v[46:47]
	v_mul_f64 v[94:95], v[138:139], s[46:47]
	v_add_f64 v[32:33], v[88:89], v[32:33]
	v_add_f64 v[64:65], v[54:55], v[64:65]
	v_fma_f64 v[54:55], v[130:131], s[34:35], -v[98:99]
	v_mul_f64 v[98:99], v[136:137], s[34:35]
	v_add_f64 v[54:55], v[54:55], v[68:69]
	v_fma_f64 v[68:69], v[190:191], s[50:51], v[74:75]
	v_add_f64 v[98:99], v[140:141], v[98:99]
	v_add_f64 v[28:29], v[28:29], v[54:55]
	;; [unrolled: 1-line block ×3, first 2 shown]
	v_fma_f64 v[72:73], v[180:181], s[4:5], -v[80:81]
	v_add_f64 v[68:69], v[78:79], v[68:69]
	v_add_f64 v[70:71], v[72:73], v[70:71]
	v_mul_f64 v[72:73], v[204:205], s[34:35]
	v_fma_f64 v[78:79], v[164:165], s[12:13], -v[82:83]
	v_fma_f64 v[74:75], v[200:201], s[54:55], v[72:73]
	v_fma_f64 v[72:73], v[200:201], s[42:43], v[72:73]
	v_add_f64 v[70:71], v[78:79], v[70:71]
	v_mul_f64 v[78:79], v[194:195], s[40:41]
	v_add_f64 v[62:63], v[74:75], v[62:63]
	v_mul_f64 v[74:75], v[186:187], s[42:43]
	;; [unrolled: 2-line block ×3, first 2 shown]
	v_fma_f64 v[82:83], v[190:191], s[38:39], v[78:79]
	v_fma_f64 v[78:79], v[190:191], s[52:53], v[78:79]
	;; [unrolled: 1-line block ×3, first 2 shown]
	v_fma_f64 v[74:75], v[174:175], s[34:35], -v[74:75]
	v_add_f64 v[62:63], v[82:83], v[62:63]
	v_mul_f64 v[82:83], v[182:183], s[52:53]
	v_add_f64 v[58:59], v[78:79], v[58:59]
	v_mul_f64 v[78:79], v[144:145], s[58:59]
	v_add_f64 v[60:61], v[80:81], v[60:61]
	v_fma_f64 v[80:81], v[148:149], s[36:37], v[72:73]
	v_add_f64 v[52:53], v[74:75], v[52:53]
	v_fma_f64 v[74:75], v[162:163], s[42:43], v[76:77]
	v_add_f64 v[66:67], v[80:81], v[66:67]
	v_mul_f64 v[80:81], v[154:155], s[42:43]
	v_add_f64 v[68:69], v[74:75], v[68:69]
	v_fma_f64 v[74:75], v[152:153], s[34:35], -v[80:81]
	v_fma_f64 v[84:85], v[152:153], s[34:35], v[80:81]
	v_add_f64 v[70:71], v[74:75], v[70:71]
	v_mul_f64 v[74:75], v[184:185], s[0:1]
	v_add_f64 v[64:65], v[84:85], v[64:65]
	v_fma_f64 v[84:85], v[180:181], s[40:41], v[82:83]
	v_fma_f64 v[76:77], v[176:177], s[16:17], v[74:75]
	v_fma_f64 v[74:75], v[176:177], s[48:49], v[74:75]
	v_add_f64 v[60:61], v[84:85], v[60:61]
	v_fma_f64 v[84:85], v[142:143], s[28:29], v[78:79]
	v_add_f64 v[62:63], v[76:77], v[62:63]
	v_mul_f64 v[76:77], v[166:167], s[48:49]
	v_add_f64 v[58:59], v[74:75], v[58:59]
	v_fma_f64 v[74:75], v[180:181], s[40:41], -v[82:83]
	v_add_f64 v[64:65], v[84:85], v[64:65]
	v_mul_f64 v[84:85], v[146:147], s[0:1]
	v_fma_f64 v[80:81], v[164:165], s[0:1], v[76:77]
	v_add_f64 v[74:75], v[74:75], v[52:53]
	v_add_f64 v[60:61], v[80:81], v[60:61]
	v_mul_f64 v[80:81], v[204:205], s[22:23]
	v_fma_f64 v[52:53], v[200:201], s[56:57], v[80:81]
	v_fma_f64 v[80:81], v[200:201], s[26:27], v[80:81]
	v_add_f64 v[82:83], v[52:53], v[50:51]
	v_fma_f64 v[50:51], v[134:135], s[48:49], v[84:85]
	v_add_f64 v[48:49], v[80:81], v[48:49]
	v_mul_f64 v[80:81], v[204:205], s[4:5]
	v_add_f64 v[50:51], v[50:51], v[66:67]
	v_mul_f64 v[66:67], v[138:139], s[16:17]
	v_add_f64 v[80:81], v[206:207], v[80:81]
	v_fma_f64 v[52:53], v[130:131], s[0:1], v[66:67]
	v_add_f64 v[42:43], v[80:81], v[42:43]
	v_mul_f64 v[80:81], v[180:181], s[12:13]
	v_add_f64 v[52:53], v[52:53], v[64:65]
	v_fma_f64 v[64:65], v[148:149], s[58:59], v[72:73]
	v_add_f64 v[80:81], v[80:81], -v[192:193]
	v_add_f64 v[4:5], v[106:107], v[52:53]
	v_add_f64 v[64:65], v[64:65], v[68:69]
	v_fma_f64 v[68:69], v[142:143], s[28:29], -v[78:79]
	v_add_f64 v[68:69], v[68:69], v[70:71]
	v_mul_f64 v[70:71], v[170:171], s[12:13]
	v_fma_f64 v[72:73], v[162:163], s[46:47], v[70:71]
	v_add_f64 v[62:63], v[72:73], v[62:63]
	v_mul_f64 v[72:73], v[154:155], s[30:31]
	v_fma_f64 v[78:79], v[152:153], s[12:13], v[72:73]
	v_add_f64 v[78:79], v[78:79], v[60:61]
	v_fma_f64 v[60:61], v[162:163], s[30:31], v[70:71]
	v_add_f64 v[70:71], v[60:61], v[58:59]
	v_fma_f64 v[58:59], v[164:165], s[0:1], -v[76:77]
	v_mul_f64 v[76:77], v[194:195], s[34:35]
	v_add_f64 v[74:75], v[58:59], v[74:75]
	v_fma_f64 v[58:59], v[190:191], s[42:43], v[76:77]
	v_fma_f64 v[76:77], v[190:191], s[54:55], v[76:77]
	v_add_f64 v[82:83], v[58:59], v[82:83]
	v_fma_f64 v[58:59], v[134:135], s[16:17], v[84:85]
	v_mul_f64 v[84:85], v[204:205], s[28:29]
	v_add_f64 v[48:49], v[76:77], v[48:49]
	v_mul_f64 v[76:77], v[194:195], s[22:23]
	v_add_f64 v[60:61], v[58:59], v[64:65]
	v_mul_f64 v[64:65], v[156:157], s[18:19]
	v_fma_f64 v[58:59], v[130:131], s[0:1], -v[66:67]
	v_fma_f64 v[86:87], v[200:201], s[36:37], v[84:85]
	v_fma_f64 v[84:85], v[200:201], s[58:59], v[84:85]
	;; [unrolled: 1-line block ×4, first 2 shown]
	v_add_f64 v[58:59], v[58:59], v[68:69]
	v_add_f64 v[44:45], v[86:87], v[44:45]
	v_mul_f64 v[86:87], v[194:195], s[12:13]
	v_add_f64 v[34:35], v[84:85], v[34:35]
	v_mul_f64 v[84:85], v[182:183], s[54:55]
	;; [unrolled: 2-line block ×3, first 2 shown]
	v_add_f64 v[64:65], v[64:65], v[70:71]
	v_fma_f64 v[70:71], v[152:153], s[12:13], -v[72:73]
	v_mul_f64 v[72:73], v[184:185], s[40:41]
	v_add_f64 v[86:87], v[202:203], v[86:87]
	v_fma_f64 v[92:93], v[180:181], s[34:35], -v[84:85]
	v_fma_f64 v[84:85], v[180:181], s[34:35], v[84:85]
	v_fma_f64 v[68:69], v[142:143], s[18:19], v[66:67]
	v_fma_f64 v[66:67], v[142:143], s[18:19], -v[66:67]
	v_add_f64 v[70:71], v[70:71], v[74:75]
	v_fma_f64 v[74:75], v[176:177], s[38:39], v[72:73]
	v_fma_f64 v[72:73], v[176:177], s[52:53], v[72:73]
	v_add_f64 v[42:43], v[86:87], v[42:43]
	v_mul_f64 v[86:87], v[164:165], s[28:29]
	v_add_f64 v[36:37], v[84:85], v[36:37]
	v_add_f64 v[38:39], v[92:93], v[38:39]
	v_mul_f64 v[84:85], v[166:167], s[42:43]
	v_add_f64 v[68:69], v[68:69], v[78:79]
	v_mul_f64 v[78:79], v[146:147], s[22:23]
	v_add_f64 v[66:67], v[66:67], v[70:71]
	v_add_f64 v[74:75], v[74:75], v[82:83]
	v_mul_f64 v[70:71], v[170:171], s[4:5]
	v_add_f64 v[48:49], v[72:73], v[48:49]
	v_mul_f64 v[72:73], v[184:185], s[34:35]
	v_add_f64 v[86:87], v[86:87], -v[188:189]
	v_fma_f64 v[92:93], v[164:165], s[34:35], -v[84:85]
	v_fma_f64 v[84:85], v[164:165], s[34:35], v[84:85]
	v_fma_f64 v[82:83], v[134:135], s[56:57], v[78:79]
	;; [unrolled: 1-line block ×3, first 2 shown]
	v_add_f64 v[46:47], v[92:93], v[46:47]
	v_add_f64 v[32:33], v[84:85], v[32:33]
	;; [unrolled: 1-line block ×3, first 2 shown]
	v_fma_f64 v[82:83], v[162:163], s[20:21], v[70:71]
	v_fma_f64 v[70:71], v[162:163], s[50:51], v[70:71]
	v_add_f64 v[78:79], v[78:79], v[62:63]
	v_add_f64 v[74:75], v[82:83], v[74:75]
	v_mul_f64 v[82:83], v[174:175], s[4:5]
	v_add_f64 v[48:49], v[70:71], v[48:49]
	v_mul_f64 v[70:71], v[170:171], s[18:19]
	v_add_f64 v[82:83], v[82:83], -v[196:197]
	v_add_f64 v[40:41], v[82:83], v[40:41]
	v_fma_f64 v[82:83], v[190:191], s[26:27], v[76:77]
	v_fma_f64 v[76:77], v[190:191], s[56:57], v[76:77]
	v_add_f64 v[40:41], v[80:81], v[40:41]
	v_add_f64 v[44:45], v[82:83], v[44:45]
	v_mul_f64 v[82:83], v[184:185], s[28:29]
	v_fma_f64 v[80:81], v[176:177], s[42:43], v[72:73]
	v_fma_f64 v[72:73], v[176:177], s[54:55], v[72:73]
	v_add_f64 v[34:35], v[76:77], v[34:35]
	v_mul_f64 v[76:77], v[166:167], s[52:53]
	v_add_f64 v[40:41], v[86:87], v[40:41]
	v_mul_f64 v[86:87], v[154:155], s[44:45]
	v_add_f64 v[82:83], v[198:199], v[82:83]
	v_add_f64 v[44:45], v[80:81], v[44:45]
	v_mul_f64 v[80:81], v[170:171], s[40:41]
	v_add_f64 v[34:35], v[72:73], v[34:35]
	v_fma_f64 v[90:91], v[164:165], s[40:41], -v[76:77]
	v_fma_f64 v[76:77], v[164:165], s[40:41], v[76:77]
	v_mul_f64 v[72:73], v[154:155], s[50:51]
	v_add_f64 v[42:43], v[82:83], v[42:43]
	v_mul_f64 v[82:83], v[152:153], s[40:41]
	v_add_f64 v[80:81], v[178:179], v[80:81]
	v_add_f64 v[38:39], v[90:91], v[38:39]
	;; [unrolled: 1-line block ×3, first 2 shown]
	v_fma_f64 v[88:89], v[152:153], s[4:5], -v[72:73]
	v_fma_f64 v[72:73], v[152:153], s[4:5], v[72:73]
	v_fma_f64 v[76:77], v[162:163], s[44:45], v[70:71]
	;; [unrolled: 1-line block ×3, first 2 shown]
	v_fma_f64 v[90:91], v[152:153], s[18:19], -v[86:87]
	v_fma_f64 v[86:87], v[152:153], s[18:19], v[86:87]
	v_add_f64 v[82:83], v[82:83], -v[168:169]
	v_add_f64 v[42:43], v[80:81], v[42:43]
	v_mul_f64 v[80:81], v[142:143], s[22:23]
	v_add_f64 v[38:39], v[88:89], v[38:39]
	v_add_f64 v[36:37], v[72:73], v[36:37]
	v_mul_f64 v[72:73], v[156:157], s[0:1]
	v_add_f64 v[34:35], v[70:71], v[34:35]
	v_mul_f64 v[70:71], v[144:145], s[16:17]
	v_mul_f64 v[88:89], v[144:145], s[52:53]
	v_add_f64 v[44:45], v[76:77], v[44:45]
	v_mul_f64 v[76:77], v[156:157], s[22:23]
	v_add_f64 v[46:47], v[90:91], v[46:47]
	v_add_f64 v[32:33], v[86:87], v[32:33]
	v_mul_f64 v[86:87], v[138:139], s[56:57]
	v_add_f64 v[40:41], v[82:83], v[40:41]
	v_add_f64 v[80:81], v[80:81], -v[160:161]
	v_fma_f64 v[82:83], v[148:149], s[16:17], v[72:73]
	v_fma_f64 v[72:73], v[148:149], s[48:49], v[72:73]
	v_fma_f64 v[90:91], v[142:143], s[0:1], -v[70:71]
	v_fma_f64 v[92:93], v[142:143], s[40:41], -v[88:89]
	v_fma_f64 v[88:89], v[142:143], s[40:41], v[88:89]
	v_add_f64 v[76:77], v[172:173], v[76:77]
	v_fma_f64 v[70:71], v[142:143], s[0:1], v[70:71]
	v_add_f64 v[40:41], v[80:81], v[40:41]
	v_mul_f64 v[80:81], v[146:147], s[28:29]
	v_add_f64 v[48:49], v[82:83], v[48:49]
	v_mul_f64 v[82:83], v[156:157], s[40:41]
	v_add_f64 v[38:39], v[90:91], v[38:39]
	v_add_f64 v[46:47], v[92:93], v[46:47]
	v_mul_f64 v[92:93], v[146:147], s[12:13]
	v_add_f64 v[42:43], v[76:77], v[42:43]
	v_mul_f64 v[76:77], v[130:131], s[18:19]
	;; [unrolled: 2-line block ×4, first 2 shown]
	v_add_f64 v[36:37], v[70:71], v[36:37]
	v_fma_f64 v[70:71], v[130:131], s[22:23], v[86:87]
	v_fma_f64 v[86:87], v[130:131], s[22:23], -v[86:87]
	v_fma_f64 v[90:91], v[134:135], s[36:37], v[80:81]
	v_fma_f64 v[80:81], v[134:135], s[58:59], v[80:81]
	;; [unrolled: 1-line block ×4, first 2 shown]
	v_add_f64 v[76:77], v[76:77], -v[150:151]
	v_fma_f64 v[96:97], v[130:131], s[28:29], -v[74:75]
	v_fma_f64 v[74:75], v[130:131], s[28:29], v[74:75]
	v_add_f64 v[88:89], v[88:89], -v[132:133]
	v_add_f64 v[68:69], v[70:71], v[68:69]
	v_fma_f64 v[70:71], v[126:127], s[48:49], v[102:103]
	v_add_f64 v[66:67], v[86:87], v[66:67]
	v_fma_f64 v[86:87], v[126:127], s[20:21], v[100:101]
	v_fma_f64 v[102:103], v[126:127], s[16:17], v[102:103]
	v_add_f64 v[48:49], v[90:91], v[48:49]
	v_fma_f64 v[90:91], v[134:135], s[46:47], v[92:93]
	v_fma_f64 v[92:93], v[134:135], s[30:31], v[92:93]
	v_add_f64 v[72:73], v[80:81], v[72:73]
	v_fma_f64 v[80:81], v[124:125], s[4:5], -v[104:105]
	v_add_f64 v[44:45], v[84:85], v[44:45]
	v_mul_f64 v[84:85], v[146:147], s[18:19]
	v_add_f64 v[34:35], v[82:83], v[34:35]
	v_fma_f64 v[82:83], v[130:131], s[12:13], -v[94:95]
	v_fma_f64 v[94:95], v[130:131], s[12:13], v[94:95]
	v_add_f64 v[40:41], v[76:77], v[40:41]
	v_mul_f64 v[76:77], v[128:129], s[48:49]
	v_add_f64 v[96:97], v[96:97], v[38:39]
	v_add_f64 v[74:75], v[74:75], v[36:37]
	v_fma_f64 v[104:105], v[124:125], s[4:5], v[104:105]
	v_add_f64 v[44:45], v[90:91], v[44:45]
	v_add_f64 v[84:85], v[158:159], v[84:85]
	v_mul_f64 v[90:91], v[136:137], s[22:23]
	v_add_f64 v[82:83], v[82:83], v[46:47]
	v_mul_f64 v[46:47], v[128:129], s[24:25]
	v_add_f64 v[92:93], v[92:93], v[34:35]
	v_fma_f64 v[36:37], v[124:125], s[0:1], -v[76:77]
	v_fma_f64 v[76:77], v[124:125], s[0:1], v[76:77]
	v_add_f64 v[94:95], v[94:95], v[32:33]
	v_add_f64 v[32:33], v[112:113], v[58:59]
	;; [unrolled: 1-line block ×3, first 2 shown]
	v_mul_f64 v[42:43], v[136:137], s[18:19]
	v_fma_f64 v[38:39], v[126:127], s[26:27], v[90:91]
	v_fma_f64 v[110:111], v[124:125], s[18:19], -v[46:47]
	v_fma_f64 v[108:109], v[126:127], s[56:57], v[90:91]
	v_fma_f64 v[90:91], v[126:127], s[50:51], v[100:101]
	;; [unrolled: 1-line block ×3, first 2 shown]
	v_add_f64 v[46:47], v[70:71], v[44:45]
	v_add_f64 v[44:45], v[36:37], v[82:83]
	;; [unrolled: 1-line block ×4, first 2 shown]
	v_fma_f64 v[62:63], v[126:127], s[24:25], v[42:43]
	v_fma_f64 v[100:101], v[126:127], s[44:45], v[42:43]
	v_add_f64 v[34:35], v[38:39], v[60:61]
	v_add_f64 v[60:61], v[88:89], v[40:41]
	;; [unrolled: 1-line block ×5, first 2 shown]
	v_mul_u32_u24_e32 v64, 17, v227
	v_add_f64 v[50:51], v[86:87], v[78:79]
	v_add_f64 v[52:53], v[56:57], v[74:75]
	;; [unrolled: 1-line block ×3, first 2 shown]
	v_lshlrev_b32_e32 v64, 4, v64
	v_add_f64 v[42:43], v[62:63], v[48:49]
	v_add_f64 v[62:63], v[98:99], v[84:85]
	v_add_f64 v[48:49], v[104:105], v[68:69]
	v_add_f64 v[54:55], v[100:101], v[72:73]
	ds_write_b128 v64, v[0:3]
	ds_write_b128 v64, v[60:63] offset:16
	ds_write_b128 v64, v[44:47] offset:32
	;; [unrolled: 1-line block ×15, first 2 shown]
	s_clause 0x3
	buffer_load_dword v0, off, s[60:63], 0 offset:4
	buffer_load_dword v1, off, s[60:63], 0 offset:8
	;; [unrolled: 1-line block ×4, first 2 shown]
	s_waitcnt vmcnt(0)
	ds_write_b128 v64, v[0:3] offset:256
.LBB0_7:
	s_or_b32 exec_lo, exec_lo, s33
	s_waitcnt lgkmcnt(0)
	s_barrier
	buffer_gl0_inv
	ds_read_b128 v[40:43], v244
	ds_read_b128 v[126:129], v244 offset:8976
	ds_read_b128 v[130:133], v244 offset:17952
	;; [unrolled: 1-line block ×29, first 2 shown]
	buffer_store_dword v243, off, s[60:63], 0 ; 4-byte Folded Spill
	buffer_load_dword v0, off, s[60:63], 0  ; 4-byte Folded Reload
	v_add_co_u32 v212, null, 0x66, v243
	v_add_co_u32 v218, null, 0x99, v243
	;; [unrolled: 1-line block ×3, first 2 shown]
	v_and_b32_e32 v213, 0xff, v212
	v_add_co_u32 v229, null, 0xff, v243
	v_add_co_u32 v228, null, 0x132, v243
	;; [unrolled: 1-line block ×5, first 2 shown]
	s_mov_b32 s12, 0xe8584caa
	s_mov_b32 s13, 0x3febb67a
	s_mov_b32 s17, 0xbfebb67a
	s_mov_b32 s16, s12
	s_mov_b32 s30, 0xf8bb580b
	s_mov_b32 s42, 0x8eee2c13
	s_mov_b32 s18, 0x43842ef
	s_mov_b32 s26, 0xbb3a28a1
	s_mov_b32 s34, 0xfd768dbf
	s_mov_b32 s31, 0xbfe14ced
	s_mov_b32 s43, 0xbfed1bb4
	s_mov_b32 s19, 0xbfefac9e
	s_mov_b32 s27, 0xbfe82f19
	s_mov_b32 s35, 0xbfd207e7
	s_mov_b32 s22, 0x8764f0ba
	s_mov_b32 s20, 0xd9c712b6
	s_mov_b32 s0, 0x640f44db
	s_mov_b32 s24, 0x7f775887
	s_mov_b32 s28, 0x9bcd5057
	s_mov_b32 s23, 0x3feaeb8c
	s_mov_b32 s21, 0x3fda9628
	s_mov_b32 s1, 0xbfc2375f
	s_mov_b32 s25, 0xbfe4f49e
	s_mov_b32 s29, 0xbfeeb42a
	s_mov_b32 s45, 0x3fd207e7
	s_mov_b32 s44, s34
	s_mov_b32 s41, 0x3fefac9e
	s_mov_b32 s40, s18
	s_mov_b32 s39, 0x3fe14ced
	s_mov_b32 s38, s30
	s_mov_b32 s37, 0x3fed1bb4
	s_mov_b32 s36, s42
	s_add_u32 s4, s6, 0x6930
	s_addc_u32 s5, s7, 0
	s_waitcnt vmcnt(0)
	v_add_co_u32 v255, null, 0x1fe, v0
	ds_read_b128 v[0:3], v244 offset:8160
	ds_read_b128 v[48:51], v244 offset:17136
	ds_read_b128 v[44:47], v244 offset:26112
	s_clause 0x1
	buffer_load_dword v124, off, s[60:63], 0
	buffer_load_dword v125, off, s[60:63], 0
	s_waitcnt vmcnt(1)
	v_and_b32_e32 v124, 0xff, v124
	v_mul_lo_u16 v124, 0xf1, v124
	v_lshrrev_b16 v190, 12, v124
	v_mul_lo_u16 v124, v190, 17
	s_waitcnt vmcnt(0)
	v_sub_nc_u16 v191, v125, v124
	v_lshlrev_b16 v124, 1, v191
	v_and_b32_e32 v124, 0xfe, v124
	v_lshlrev_b32_e32 v124, 4, v124
	s_clause 0x1
	global_load_dwordx4 v[134:137], v124, s[2:3] offset:16
	global_load_dwordx4 v[138:141], v124, s[2:3]
	s_waitcnt vmcnt(0) lgkmcnt(31)
	v_mul_f64 v[124:125], v[128:129], v[140:141]
	v_fma_f64 v[124:125], v[126:127], v[138:139], -v[124:125]
	v_mul_f64 v[126:127], v[126:127], v[140:141]
	buffer_store_dword v138, off, s[60:63], 0 offset:420 ; 4-byte Folded Spill
	buffer_store_dword v139, off, s[60:63], 0 offset:424 ; 4-byte Folded Spill
	;; [unrolled: 1-line block ×4, first 2 shown]
	v_fma_f64 v[126:127], v[128:129], v[138:139], v[126:127]
	s_waitcnt lgkmcnt(30)
	v_mul_f64 v[128:129], v[132:133], v[136:137]
	v_fma_f64 v[128:129], v[130:131], v[134:135], -v[128:129]
	v_mul_f64 v[130:131], v[130:131], v[136:137]
	buffer_store_dword v134, off, s[60:63], 0 offset:404 ; 4-byte Folded Spill
	buffer_store_dword v135, off, s[60:63], 0 offset:408 ; 4-byte Folded Spill
	;; [unrolled: 1-line block ×4, first 2 shown]
	v_fma_f64 v[130:131], v[132:133], v[134:135], v[130:131]
	v_and_b32_e32 v132, 0xff, v227
	v_mul_lo_u16 v132, 0xf1, v132
	v_lshrrev_b16 v180, 12, v132
	v_mul_lo_u16 v132, v180, 17
	v_sub_nc_u16 v132, v227, v132
	v_and_b32_e32 v181, 0xff, v132
	v_lshlrev_b32_e32 v132, 5, v181
	s_clause 0x1
	global_load_dwordx4 v[136:139], v132, s[2:3] offset:16
	global_load_dwordx4 v[140:143], v132, s[2:3]
	s_waitcnt vmcnt(0) lgkmcnt(28)
	v_mul_f64 v[132:133], v[122:123], v[142:143]
	v_fma_f64 v[132:133], v[120:121], v[140:141], -v[132:133]
	v_mul_f64 v[120:121], v[120:121], v[142:143]
	buffer_store_dword v140, off, s[60:63], 0 offset:468 ; 4-byte Folded Spill
	buffer_store_dword v141, off, s[60:63], 0 offset:472 ; 4-byte Folded Spill
	;; [unrolled: 1-line block ×4, first 2 shown]
	v_fma_f64 v[122:123], v[122:123], v[140:141], v[120:121]
	s_waitcnt lgkmcnt(27)
	v_mul_f64 v[120:121], v[118:119], v[138:139]
	v_fma_f64 v[134:135], v[116:117], v[136:137], -v[120:121]
	v_mul_f64 v[116:117], v[116:117], v[138:139]
	buffer_store_dword v136, off, s[60:63], 0 offset:436 ; 4-byte Folded Spill
	buffer_store_dword v137, off, s[60:63], 0 offset:440 ; 4-byte Folded Spill
	;; [unrolled: 1-line block ×4, first 2 shown]
	v_fma_f64 v[118:119], v[118:119], v[136:137], v[116:117]
	v_mul_lo_u16 v116, 0xf1, v213
	v_lshrrev_b16 v178, 12, v116
	v_mul_lo_u16 v116, v178, 17
	v_sub_nc_u16 v116, v212, v116
	v_and_b32_e32 v179, 0xff, v116
	v_lshlrev_b32_e32 v116, 5, v179
	s_clause 0x1
	global_load_dwordx4 v[142:145], v116, s[2:3] offset:16
	global_load_dwordx4 v[136:139], v116, s[2:3]
	s_waitcnt vmcnt(0) lgkmcnt(25)
	v_mul_f64 v[116:117], v[114:115], v[138:139]
	v_fma_f64 v[120:121], v[112:113], v[136:137], -v[116:117]
	v_mul_f64 v[112:113], v[112:113], v[138:139]
	buffer_store_dword v136, off, s[60:63], 0 offset:500 ; 4-byte Folded Spill
	buffer_store_dword v137, off, s[60:63], 0 offset:504 ; 4-byte Folded Spill
	;; [unrolled: 1-line block ×4, first 2 shown]
	v_fma_f64 v[138:139], v[114:115], v[136:137], v[112:113]
	s_waitcnt lgkmcnt(24)
	v_mul_f64 v[112:113], v[110:111], v[144:145]
	v_fma_f64 v[140:141], v[108:109], v[142:143], -v[112:113]
	v_mul_f64 v[108:109], v[108:109], v[144:145]
	buffer_store_dword v142, off, s[60:63], 0 offset:452 ; 4-byte Folded Spill
	buffer_store_dword v143, off, s[60:63], 0 offset:456 ; 4-byte Folded Spill
	;; [unrolled: 1-line block ×4, first 2 shown]
	v_fma_f64 v[148:149], v[110:111], v[142:143], v[108:109]
	v_and_b32_e32 v108, 0xff, v218
	v_mul_lo_u16 v108, 0xf1, v108
	v_lshrrev_b16 v176, 12, v108
	v_mul_lo_u16 v108, v176, 17
	v_sub_nc_u16 v108, v218, v108
	v_and_b32_e32 v177, 0xff, v108
	v_lshlrev_b32_e32 v108, 5, v177
	s_clause 0x1
	global_load_dwordx4 v[110:113], v108, s[2:3] offset:16
	global_load_dwordx4 v[114:117], v108, s[2:3]
	s_waitcnt vmcnt(0) lgkmcnt(22)
	v_mul_f64 v[108:109], v[106:107], v[116:117]
	v_fma_f64 v[136:137], v[104:105], v[114:115], -v[108:109]
	v_mul_f64 v[104:105], v[104:105], v[116:117]
	buffer_store_dword v114, off, s[60:63], 0 offset:532 ; 4-byte Folded Spill
	buffer_store_dword v115, off, s[60:63], 0 offset:536 ; 4-byte Folded Spill
	;; [unrolled: 1-line block ×4, first 2 shown]
	v_fma_f64 v[144:145], v[106:107], v[114:115], v[104:105]
	s_waitcnt lgkmcnt(21)
	v_mul_f64 v[104:105], v[102:103], v[112:113]
	v_fma_f64 v[146:147], v[100:101], v[110:111], -v[104:105]
	v_mul_f64 v[100:101], v[100:101], v[112:113]
	buffer_store_dword v110, off, s[60:63], 0 offset:484 ; 4-byte Folded Spill
	buffer_store_dword v111, off, s[60:63], 0 offset:488 ; 4-byte Folded Spill
	;; [unrolled: 1-line block ×4, first 2 shown]
	v_fma_f64 v[154:155], v[102:103], v[110:111], v[100:101]
	v_and_b32_e32 v100, 0xff, v230
	v_mul_lo_u16 v100, 0xf1, v100
	v_lshrrev_b16 v174, 12, v100
	v_mul_lo_u16 v100, v174, 17
	v_sub_nc_u16 v100, v230, v100
	v_and_b32_e32 v175, 0xff, v100
	v_lshlrev_b32_e32 v100, 5, v175
	s_clause 0x1
	global_load_dwordx4 v[102:105], v100, s[2:3] offset:16
	global_load_dwordx4 v[106:109], v100, s[2:3]
	s_waitcnt vmcnt(0) lgkmcnt(19)
	v_mul_f64 v[100:101], v[98:99], v[108:109]
	v_fma_f64 v[142:143], v[96:97], v[106:107], -v[100:101]
	v_mul_f64 v[96:97], v[96:97], v[108:109]
	buffer_store_dword v106, off, s[60:63], 0 offset:548 ; 4-byte Folded Spill
	buffer_store_dword v107, off, s[60:63], 0 offset:552 ; 4-byte Folded Spill
	;; [unrolled: 1-line block ×4, first 2 shown]
	v_fma_f64 v[150:151], v[98:99], v[106:107], v[96:97]
	s_waitcnt lgkmcnt(18)
	v_mul_f64 v[96:97], v[94:95], v[104:105]
	v_fma_f64 v[152:153], v[92:93], v[102:103], -v[96:97]
	v_mul_f64 v[92:93], v[92:93], v[104:105]
	buffer_store_dword v102, off, s[60:63], 0 offset:516 ; 4-byte Folded Spill
	buffer_store_dword v103, off, s[60:63], 0 offset:520 ; 4-byte Folded Spill
	;; [unrolled: 1-line block ×4, first 2 shown]
	v_fma_f64 v[156:157], v[94:95], v[102:103], v[92:93]
	v_mov_b32_e32 v94, 0xf0f1
	v_mul_u32_u24_sdwa v92, v229, v94 dst_sel:DWORD dst_unused:UNUSED_PAD src0_sel:WORD_0 src1_sel:DWORD
	v_lshrrev_b32_e32 v182, 20, v92
	v_mul_lo_u16 v92, v182, 17
	v_sub_nc_u16 v183, v229, v92
	v_lshlrev_b16 v92, 1, v183
	v_lshlrev_b32_sdwa v92, v222, v92 dst_sel:DWORD dst_unused:UNUSED_PAD src0_sel:DWORD src1_sel:WORD_0
	s_clause 0x1
	global_load_dwordx4 v[95:98], v92, s[2:3] offset:16
	global_load_dwordx4 v[99:102], v92, s[2:3]
	s_waitcnt vmcnt(0) lgkmcnt(16)
	v_mul_f64 v[92:93], v[90:91], v[101:102]
	v_fma_f64 v[158:159], v[88:89], v[99:100], -v[92:93]
	v_mul_f64 v[88:89], v[88:89], v[101:102]
	buffer_store_dword v99, off, s[60:63], 0 offset:580 ; 4-byte Folded Spill
	buffer_store_dword v100, off, s[60:63], 0 offset:584 ; 4-byte Folded Spill
	buffer_store_dword v101, off, s[60:63], 0 offset:588 ; 4-byte Folded Spill
	buffer_store_dword v102, off, s[60:63], 0 offset:592 ; 4-byte Folded Spill
	v_fma_f64 v[160:161], v[90:91], v[99:100], v[88:89]
	s_waitcnt lgkmcnt(15)
	v_mul_f64 v[88:89], v[86:87], v[97:98]
	v_fma_f64 v[162:163], v[84:85], v[95:96], -v[88:89]
	v_mul_f64 v[84:85], v[84:85], v[97:98]
	buffer_store_dword v95, off, s[60:63], 0 offset:564 ; 4-byte Folded Spill
	buffer_store_dword v96, off, s[60:63], 0 offset:568 ; 4-byte Folded Spill
	buffer_store_dword v97, off, s[60:63], 0 offset:572 ; 4-byte Folded Spill
	buffer_store_dword v98, off, s[60:63], 0 offset:576 ; 4-byte Folded Spill
	v_fma_f64 v[164:165], v[86:87], v[95:96], v[84:85]
	v_mul_u32_u24_sdwa v84, v228, v94 dst_sel:DWORD dst_unused:UNUSED_PAD src0_sel:WORD_0 src1_sel:DWORD
	v_lshrrev_b32_e32 v184, 20, v84
	v_mul_lo_u16 v84, v184, 17
	v_sub_nc_u16 v185, v228, v84
	v_lshlrev_b16 v84, 1, v185
	v_lshlrev_b32_sdwa v84, v222, v84 dst_sel:DWORD dst_unused:UNUSED_PAD src0_sel:DWORD src1_sel:WORD_0
	s_clause 0x1
	global_load_dwordx4 v[86:89], v84, s[2:3] offset:16
	global_load_dwordx4 v[90:93], v84, s[2:3]
	s_waitcnt vmcnt(0) lgkmcnt(13)
	v_mul_f64 v[84:85], v[82:83], v[92:93]
	v_fma_f64 v[166:167], v[80:81], v[90:91], -v[84:85]
	v_mul_f64 v[80:81], v[80:81], v[92:93]
	buffer_store_dword v90, off, s[60:63], 0 offset:612 ; 4-byte Folded Spill
	buffer_store_dword v91, off, s[60:63], 0 offset:616 ; 4-byte Folded Spill
	buffer_store_dword v92, off, s[60:63], 0 offset:620 ; 4-byte Folded Spill
	buffer_store_dword v93, off, s[60:63], 0 offset:624 ; 4-byte Folded Spill
	v_fma_f64 v[168:169], v[82:83], v[90:91], v[80:81]
	s_waitcnt lgkmcnt(12)
	v_mul_f64 v[80:81], v[78:79], v[88:89]
	v_fma_f64 v[170:171], v[76:77], v[86:87], -v[80:81]
	v_mul_f64 v[76:77], v[76:77], v[88:89]
	buffer_store_dword v86, off, s[60:63], 0 offset:596 ; 4-byte Folded Spill
	buffer_store_dword v87, off, s[60:63], 0 offset:600 ; 4-byte Folded Spill
	buffer_store_dword v88, off, s[60:63], 0 offset:604 ; 4-byte Folded Spill
	buffer_store_dword v89, off, s[60:63], 0 offset:608 ; 4-byte Folded Spill
	v_fma_f64 v[172:173], v[78:79], v[86:87], v[76:77]
	;; [unrolled: 27-line block ×4, first 2 shown]
	v_mov_b32_e32 v61, v192
	v_mul_u32_u24_sdwa v60, v61, v94 dst_sel:DWORD dst_unused:UNUSED_PAD src0_sel:WORD_0 src1_sel:DWORD
	buffer_store_dword v61, off, s[60:63], 0 offset:1232 ; 4-byte Folded Spill
	v_lshrrev_b32_e32 v192, 20, v60
	v_mul_lo_u16 v60, v192, 17
	v_sub_nc_u16 v193, v61, v60
	v_lshlrev_b16 v60, 1, v193
	v_lshlrev_b32_sdwa v60, v222, v60 dst_sel:DWORD dst_unused:UNUSED_PAD src0_sel:DWORD src1_sel:WORD_0
	s_clause 0x1
	global_load_dwordx4 v[62:65], v60, s[2:3] offset:16
	global_load_dwordx4 v[66:69], v60, s[2:3]
	s_waitcnt vmcnt(0) lgkmcnt(4)
	v_mul_f64 v[60:61], v[58:59], v[68:69]
	v_fma_f64 v[237:238], v[56:57], v[66:67], -v[60:61]
	v_mul_f64 v[56:57], v[56:57], v[68:69]
	buffer_store_dword v66, off, s[60:63], 0 offset:712 ; 4-byte Folded Spill
	buffer_store_dword v67, off, s[60:63], 0 offset:716 ; 4-byte Folded Spill
	;; [unrolled: 1-line block ×4, first 2 shown]
	v_fma_f64 v[239:240], v[58:59], v[66:67], v[56:57]
	s_waitcnt lgkmcnt(3)
	v_mul_f64 v[56:57], v[54:55], v[64:65]
	v_fma_f64 v[241:242], v[52:53], v[62:63], -v[56:57]
	v_mul_f64 v[52:53], v[52:53], v[64:65]
	buffer_store_dword v62, off, s[60:63], 0 offset:692 ; 4-byte Folded Spill
	buffer_store_dword v63, off, s[60:63], 0 offset:696 ; 4-byte Folded Spill
	buffer_store_dword v64, off, s[60:63], 0 offset:700 ; 4-byte Folded Spill
	buffer_store_dword v65, off, s[60:63], 0 offset:704 ; 4-byte Folded Spill
	v_fma_f64 v[245:246], v[54:55], v[62:63], v[52:53]
	v_mul_u32_u24_sdwa v52, v255, v94 dst_sel:DWORD dst_unused:UNUSED_PAD src0_sel:WORD_0 src1_sel:DWORD
	v_lshrrev_b32_e32 v194, 20, v52
	v_mul_lo_u16 v52, v194, 17
	v_sub_nc_u16 v195, v255, v52
	v_lshlrev_b16 v52, 1, v195
	v_lshlrev_b32_sdwa v52, v222, v52 dst_sel:DWORD dst_unused:UNUSED_PAD src0_sel:DWORD src1_sel:WORD_0
	s_clause 0x1
	global_load_dwordx4 v[54:57], v52, s[2:3] offset:16
	global_load_dwordx4 v[58:61], v52, s[2:3]
	s_waitcnt vmcnt(0) lgkmcnt(1)
	v_mul_f64 v[52:53], v[50:51], v[60:61]
	v_fma_f64 v[247:248], v[48:49], v[58:59], -v[52:53]
	v_mul_f64 v[48:49], v[48:49], v[60:61]
	buffer_store_dword v58, off, s[60:63], 0 offset:744 ; 4-byte Folded Spill
	buffer_store_dword v59, off, s[60:63], 0 offset:748 ; 4-byte Folded Spill
	;; [unrolled: 1-line block ×4, first 2 shown]
	v_fma_f64 v[249:250], v[50:51], v[58:59], v[48:49]
	s_waitcnt lgkmcnt(0)
	v_mul_f64 v[48:49], v[46:47], v[56:57]
	v_fma_f64 v[251:252], v[44:45], v[54:55], -v[48:49]
	v_mul_f64 v[44:45], v[44:45], v[56:57]
	buffer_store_dword v54, off, s[60:63], 0 offset:728 ; 4-byte Folded Spill
	buffer_store_dword v55, off, s[60:63], 0 offset:732 ; 4-byte Folded Spill
	;; [unrolled: 1-line block ×4, first 2 shown]
	s_waitcnt_vscnt null, 0x0
	s_barrier
	buffer_gl0_inv
	v_fma_f64 v[216:217], v[46:47], v[54:55], v[44:45]
	v_add_f64 v[44:45], v[40:41], v[124:125]
	v_add_f64 v[196:197], v[44:45], v[128:129]
	v_add_f64 v[44:45], v[124:125], v[128:129]
	v_fma_f64 v[40:41], v[44:45], -0.5, v[40:41]
	v_add_f64 v[44:45], v[126:127], -v[130:131]
	v_fma_f64 v[200:201], v[44:45], s[12:13], v[40:41]
	v_fma_f64 v[204:205], v[44:45], s[16:17], v[40:41]
	v_add_f64 v[40:41], v[42:43], v[126:127]
	v_add_f64 v[198:199], v[40:41], v[130:131]
	v_add_f64 v[40:41], v[126:127], v[130:131]
	v_fma_f64 v[40:41], v[40:41], -0.5, v[42:43]
	v_add_f64 v[42:43], v[124:125], -v[128:129]
	v_fma_f64 v[202:203], v[42:43], s[16:17], v[40:41]
	;; [unrolled: 7-line block ×5, first 2 shown]
	v_fma_f64 v[100:101], v[36:37], s[16:17], v[32:33]
	v_add_f64 v[32:33], v[34:35], v[138:139]
	v_add_f64 v[98:99], v[32:33], v[148:149]
	v_add_f64 v[32:33], v[138:139], v[148:149]
	v_fma_f64 v[32:33], v[32:33], -0.5, v[34:35]
	v_add_f64 v[34:35], v[120:121], -v[140:141]
	v_add_f64 v[120:121], v[247:248], -v[251:252]
	v_fma_f64 v[106:107], v[34:35], s[16:17], v[32:33]
	v_fma_f64 v[102:103], v[34:35], s[12:13], v[32:33]
	v_add_f64 v[32:33], v[28:29], v[136:137]
	v_add_f64 v[84:85], v[32:33], v[146:147]
	v_add_f64 v[32:33], v[136:137], v[146:147]
	v_fma_f64 v[28:29], v[32:33], -0.5, v[28:29]
	v_add_f64 v[32:33], v[144:145], -v[154:155]
	v_fma_f64 v[92:93], v[32:33], s[12:13], v[28:29]
	v_fma_f64 v[88:89], v[32:33], s[16:17], v[28:29]
	v_add_f64 v[28:29], v[30:31], v[144:145]
	v_add_f64 v[86:87], v[28:29], v[154:155]
	v_add_f64 v[28:29], v[144:145], v[154:155]
	v_fma_f64 v[28:29], v[28:29], -0.5, v[30:31]
	;; [unrolled: 7-line block ×12, first 2 shown]
	v_add_f64 v[10:11], v[225:226], -v[233:234]
	v_fma_f64 v[34:35], v[10:11], s[16:17], v[8:9]
	v_fma_f64 v[30:31], v[10:11], s[12:13], v[8:9]
	v_add_f64 v[8:9], v[4:5], v[237:238]
	v_add_f64 v[10:11], v[249:250], v[216:217]
	v_add_f64 v[12:13], v[8:9], v[241:242]
	v_add_f64 v[8:9], v[237:238], v[241:242]
	v_fma_f64 v[4:5], v[8:9], -0.5, v[4:5]
	v_add_f64 v[8:9], v[239:240], -v[245:246]
	v_fma_f64 v[20:21], v[8:9], s[12:13], v[4:5]
	v_fma_f64 v[16:17], v[8:9], s[16:17], v[4:5]
	v_add_f64 v[4:5], v[6:7], v[239:240]
	v_add_f64 v[14:15], v[4:5], v[245:246]
	;; [unrolled: 1-line block ×3, first 2 shown]
	v_fma_f64 v[4:5], v[4:5], -0.5, v[6:7]
	v_add_f64 v[6:7], v[237:238], -v[241:242]
	v_fma_f64 v[22:23], v[6:7], s[16:17], v[4:5]
	v_fma_f64 v[18:19], v[6:7], s[12:13], v[4:5]
	v_add_f64 v[6:7], v[247:248], v[251:252]
	v_add_f64 v[4:5], v[0:1], v[247:248]
	v_fma_f64 v[0:1], v[6:7], -0.5, v[0:1]
	v_add_f64 v[6:7], v[249:250], -v[216:217]
	v_add_f64 v[4:5], v[4:5], v[251:252]
	v_fma_f64 v[8:9], v[6:7], s[12:13], v[0:1]
	v_fma_f64 v[0:1], v[6:7], s[16:17], v[0:1]
	v_add_f64 v[6:7], v[2:3], v[249:250]
	v_fma_f64 v[2:3], v[10:11], -0.5, v[2:3]
	v_add_f64 v[6:7], v[6:7], v[216:217]
	v_fma_f64 v[10:11], v[120:121], s[16:17], v[2:3]
	v_fma_f64 v[2:3], v[120:121], s[12:13], v[2:3]
	v_mad_u16 v120, v190, 51, v191
	v_lshlrev_b32_sdwa v120, v222, v120 dst_sel:DWORD dst_unused:UNUSED_PAD src0_sel:DWORD src1_sel:BYTE_0
	ds_write_b128 v120, v[196:199]
	ds_write_b128 v120, v[200:203] offset:272
	buffer_store_dword v120, off, s[60:63], 0 offset:708 ; 4-byte Folded Spill
	ds_write_b128 v120, v[204:207] offset:544
	v_mov_b32_e32 v120, 51
	v_mul_u32_u24_sdwa v121, v180, v120 dst_sel:DWORD dst_unused:UNUSED_PAD src0_sel:WORD_0 src1_sel:DWORD
	v_add_lshl_u32 v121, v121, v181, 4
	ds_write_b128 v121, v[108:111]
	ds_write_b128 v121, v[116:119] offset:272
	v_mul_u32_u24_sdwa v108, v178, v120 dst_sel:DWORD dst_unused:UNUSED_PAD src0_sel:WORD_0 src1_sel:DWORD
	buffer_store_dword v121, off, s[60:63], 0 offset:796 ; 4-byte Folded Spill
	ds_write_b128 v121, v[112:115] offset:544
	v_add_lshl_u32 v108, v108, v179, 4
	ds_write_b128 v108, v[96:99]
	ds_write_b128 v108, v[104:107] offset:272
	v_mul_u32_u24_sdwa v96, v176, v120 dst_sel:DWORD dst_unused:UNUSED_PAD src0_sel:WORD_0 src1_sel:DWORD
	buffer_store_dword v108, off, s[60:63], 0 offset:792 ; 4-byte Folded Spill
	ds_write_b128 v108, v[100:103] offset:544
	;; [unrolled: 6-line block ×3, first 2 shown]
	v_add_lshl_u32 v84, v84, v175, 4
	ds_write_b128 v84, v[72:75]
	ds_write_b128 v84, v[80:83] offset:272
	v_mad_u16 v72, v182, 51, v183
	buffer_store_dword v84, off, s[60:63], 0 offset:780 ; 4-byte Folded Spill
	ds_write_b128 v84, v[76:79] offset:544
	v_lshlrev_b32_sdwa v72, v222, v72 dst_sel:DWORD dst_unused:UNUSED_PAD src0_sel:DWORD src1_sel:WORD_0
	ds_write_b128 v72, v[60:63]
	ds_write_b128 v72, v[68:71] offset:272
	v_mad_u16 v60, v184, 51, v185
	buffer_store_dword v72, off, s[60:63], 0 offset:776 ; 4-byte Folded Spill
	ds_write_b128 v72, v[64:67] offset:544
	v_lshlrev_b32_sdwa v60, v222, v60 dst_sel:DWORD dst_unused:UNUSED_PAD src0_sel:DWORD src1_sel:WORD_0
	;; [unrolled: 6-line block ×6, first 2 shown]
	ds_write_b128 v12, v[4:7]
	ds_write_b128 v12, v[8:11] offset:272
	buffer_store_dword v12, off, s[60:63], 0 offset:788 ; 4-byte Folded Spill
	ds_write_b128 v12, v[0:3] offset:544
	s_waitcnt lgkmcnt(0)
	s_waitcnt_vscnt null, 0x0
	s_barrier
	buffer_gl0_inv
	ds_read_b128 v[12:15], v244
	ds_read_b128 v[128:131], v244 offset:2448
	ds_read_b128 v[124:127], v244 offset:4896
	;; [unrolled: 1-line block ×32, first 2 shown]
	buffer_load_dword v132, off, s[60:63], 0 ; 4-byte Folded Reload
	s_waitcnt vmcnt(0)
	v_mad_u64_u32 v[132:133], null, 0xa0, v132, s[2:3]
	s_clause 0x9
	global_load_dwordx4 v[160:163], v[132:133], off offset:592
	global_load_dwordx4 v[164:167], v[132:133], off offset:576
	;; [unrolled: 1-line block ×10, first 2 shown]
	s_waitcnt vmcnt(6) lgkmcnt(31)
	v_mul_f64 v[134:135], v[130:131], v[186:187]
	v_fma_f64 v[208:209], v[128:129], v[184:185], -v[134:135]
	v_mul_f64 v[128:129], v[128:129], v[186:187]
	v_fma_f64 v[210:211], v[130:131], v[184:185], v[128:129]
	s_waitcnt lgkmcnt(30)
	v_mul_f64 v[128:129], v[126:127], v[170:171]
	v_fma_f64 v[200:201], v[124:125], v[168:169], -v[128:129]
	v_mul_f64 v[124:125], v[124:125], v[170:171]
	v_fma_f64 v[158:159], v[126:127], v[168:169], v[124:125]
	s_waitcnt lgkmcnt(29)
	v_mul_f64 v[124:125], v[122:123], v[166:167]
	v_fma_f64 v[156:157], v[120:121], v[164:165], -v[124:125]
	v_mul_f64 v[120:121], v[120:121], v[166:167]
	v_fma_f64 v[150:151], v[122:123], v[164:165], v[120:121]
	s_waitcnt lgkmcnt(28)
	v_mul_f64 v[120:121], v[118:119], v[162:163]
	v_fma_f64 v[148:149], v[116:117], v[160:161], -v[120:121]
	v_mul_f64 v[116:117], v[116:117], v[162:163]
	v_fma_f64 v[140:141], v[118:119], v[160:161], v[116:117]
	s_waitcnt vmcnt(2) lgkmcnt(27)
	v_mul_f64 v[116:117], v[114:115], v[194:195]
	v_fma_f64 v[142:143], v[112:113], v[192:193], -v[116:117]
	v_mul_f64 v[112:113], v[112:113], v[194:195]
	v_fma_f64 v[136:137], v[114:115], v[192:193], v[112:113]
	s_waitcnt lgkmcnt(26)
	v_mul_f64 v[112:113], v[110:111], v[182:183]
	v_fma_f64 v[144:145], v[108:109], v[180:181], -v[112:113]
	v_mul_f64 v[108:109], v[108:109], v[182:183]
	v_fma_f64 v[138:139], v[110:111], v[180:181], v[108:109]
	s_waitcnt lgkmcnt(25)
	v_mul_f64 v[108:109], v[106:107], v[178:179]
	v_fma_f64 v[152:153], v[104:105], v[176:177], -v[108:109]
	v_mul_f64 v[104:105], v[104:105], v[178:179]
	v_fma_f64 v[146:147], v[106:107], v[176:177], v[104:105]
	s_waitcnt lgkmcnt(24)
	v_mul_f64 v[104:105], v[102:103], v[174:175]
	v_fma_f64 v[202:203], v[100:101], v[172:173], -v[104:105]
	v_mul_f64 v[100:101], v[100:101], v[174:175]
	v_fma_f64 v[154:155], v[102:103], v[172:173], v[100:101]
	;; [unrolled: 20-line block ×3, first 2 shown]
	s_waitcnt lgkmcnt(18)
	v_mul_f64 v[84:85], v[82:83], v[166:167]
	v_fma_f64 v[84:85], v[80:81], v[164:165], -v[84:85]
	v_mul_f64 v[80:81], v[80:81], v[166:167]
	v_fma_f64 v[82:83], v[82:83], v[164:165], v[80:81]
	s_waitcnt lgkmcnt(17)
	v_mul_f64 v[80:81], v[78:79], v[162:163]
	v_fma_f64 v[80:81], v[76:77], v[160:161], -v[80:81]
	v_mul_f64 v[76:77], v[76:77], v[162:163]
	v_fma_f64 v[78:79], v[78:79], v[160:161], v[76:77]
	s_waitcnt lgkmcnt(16)
	v_mul_f64 v[76:77], v[74:75], v[194:195]
	v_fma_f64 v[76:77], v[72:73], v[192:193], -v[76:77]
	v_mul_f64 v[72:73], v[72:73], v[194:195]
	v_fma_f64 v[72:73], v[74:75], v[192:193], v[72:73]
	s_waitcnt lgkmcnt(15)
	v_mul_f64 v[74:75], v[70:71], v[182:183]
	v_fma_f64 v[74:75], v[68:69], v[180:181], -v[74:75]
	v_mul_f64 v[68:69], v[68:69], v[182:183]
	v_fma_f64 v[68:69], v[70:71], v[180:181], v[68:69]
	s_waitcnt lgkmcnt(14)
	v_mul_f64 v[70:71], v[66:67], v[178:179]
	v_fma_f64 v[70:71], v[64:65], v[176:177], -v[70:71]
	v_mul_f64 v[64:65], v[64:65], v[178:179]
	v_fma_f64 v[64:65], v[66:67], v[176:177], v[64:65]
	s_waitcnt lgkmcnt(13)
	v_mul_f64 v[66:67], v[62:63], v[174:175]
	v_fma_f64 v[66:67], v[60:61], v[172:173], -v[66:67]
	v_mul_f64 v[60:61], v[60:61], v[174:175]
	v_fma_f64 v[60:61], v[62:63], v[172:173], v[60:61]
	s_waitcnt lgkmcnt(12)
	v_mul_f64 v[62:63], v[58:59], v[198:199]
	v_fma_f64 v[62:63], v[56:57], v[196:197], -v[62:63]
	v_mul_f64 v[56:57], v[56:57], v[198:199]
	v_fma_f64 v[56:57], v[58:59], v[196:197], v[56:57]
	s_waitcnt lgkmcnt(11)
	v_mul_f64 v[58:59], v[54:55], v[190:191]
	v_fma_f64 v[94:95], v[52:53], v[188:189], -v[58:59]
	v_mul_f64 v[52:53], v[52:53], v[190:191]
	v_fma_f64 v[58:59], v[54:55], v[188:189], v[52:53]
	v_mul_lo_u16 v52, 0xa1, v213
	v_lshrrev_b16 v52, 13, v52
	v_mul_lo_u16 v52, v52, 51
	v_sub_nc_u16 v52, v212, v52
	v_and_b32_e32 v213, 0xff, v52
	v_mad_u64_u32 v[52:53], null, 0xa0, v213, s[2:3]
	s_clause 0x3
	global_load_dwordx4 v[96:99], v[52:53], off offset:592
	global_load_dwordx4 v[100:103], v[52:53], off offset:576
	;; [unrolled: 1-line block ×4, first 2 shown]
	v_lshlrev_b32_e32 v245, 4, v213
	s_waitcnt vmcnt(0) lgkmcnt(9)
	v_mul_f64 v[54:55], v[50:51], v[110:111]
	v_fma_f64 v[130:131], v[48:49], v[108:109], -v[54:55]
	v_mul_f64 v[48:49], v[48:49], v[110:111]
	buffer_store_dword v108, off, s[60:63], 0 offset:848 ; 4-byte Folded Spill
	buffer_store_dword v109, off, s[60:63], 0 offset:852 ; 4-byte Folded Spill
	buffer_store_dword v110, off, s[60:63], 0 offset:856 ; 4-byte Folded Spill
	buffer_store_dword v111, off, s[60:63], 0 offset:860 ; 4-byte Folded Spill
	v_fma_f64 v[128:129], v[50:51], v[108:109], v[48:49]
	s_waitcnt lgkmcnt(8)
	v_mul_f64 v[48:49], v[46:47], v[106:107]
	v_fma_f64 v[120:121], v[44:45], v[104:105], -v[48:49]
	v_mul_f64 v[44:45], v[44:45], v[106:107]
	buffer_store_dword v104, off, s[60:63], 0 offset:832 ; 4-byte Folded Spill
	buffer_store_dword v105, off, s[60:63], 0 offset:836 ; 4-byte Folded Spill
	buffer_store_dword v106, off, s[60:63], 0 offset:840 ; 4-byte Folded Spill
	buffer_store_dword v107, off, s[60:63], 0 offset:844 ; 4-byte Folded Spill
	v_fma_f64 v[118:119], v[46:47], v[104:105], v[44:45]
	s_waitcnt lgkmcnt(7)
	;; [unrolled: 9-line block ×3, first 2 shown]
	v_mul_f64 v[40:41], v[38:39], v[98:99]
	v_fma_f64 v[108:109], v[36:37], v[96:97], -v[40:41]
	v_mul_f64 v[36:37], v[36:37], v[98:99]
	buffer_store_dword v96, off, s[60:63], 0 offset:800 ; 4-byte Folded Spill
	buffer_store_dword v97, off, s[60:63], 0 offset:804 ; 4-byte Folded Spill
	;; [unrolled: 1-line block ×4, first 2 shown]
	v_fma_f64 v[104:105], v[38:39], v[96:97], v[36:37]
	s_clause 0x3
	global_load_dwordx4 v[38:41], v[52:53], off offset:656
	global_load_dwordx4 v[42:45], v[52:53], off offset:640
	;; [unrolled: 1-line block ×4, first 2 shown]
	s_waitcnt vmcnt(0) lgkmcnt(5)
	v_mul_f64 v[36:37], v[34:35], v[98:99]
	v_fma_f64 v[100:101], v[32:33], v[96:97], -v[36:37]
	v_mul_f64 v[32:33], v[32:33], v[98:99]
	buffer_store_dword v96, off, s[60:63], 0 offset:912 ; 4-byte Folded Spill
	buffer_store_dword v97, off, s[60:63], 0 offset:916 ; 4-byte Folded Spill
	buffer_store_dword v98, off, s[60:63], 0 offset:920 ; 4-byte Folded Spill
	buffer_store_dword v99, off, s[60:63], 0 offset:924 ; 4-byte Folded Spill
	v_fma_f64 v[96:97], v[34:35], v[96:97], v[32:33]
	s_waitcnt lgkmcnt(4)
	v_mul_f64 v[32:33], v[30:31], v[48:49]
	v_fma_f64 v[102:103], v[28:29], v[46:47], -v[32:33]
	v_mul_f64 v[28:29], v[28:29], v[48:49]
	buffer_store_dword v46, off, s[60:63], 0 offset:896 ; 4-byte Folded Spill
	buffer_store_dword v47, off, s[60:63], 0 offset:900 ; 4-byte Folded Spill
	buffer_store_dword v48, off, s[60:63], 0 offset:904 ; 4-byte Folded Spill
	buffer_store_dword v49, off, s[60:63], 0 offset:908 ; 4-byte Folded Spill
	v_fma_f64 v[98:99], v[30:31], v[46:47], v[28:29]
	s_waitcnt lgkmcnt(3)
	;; [unrolled: 9-line block ×3, first 2 shown]
	v_mul_f64 v[24:25], v[22:23], v[40:41]
	v_fma_f64 v[122:123], v[20:21], v[38:39], -v[24:25]
	v_mul_f64 v[20:21], v[20:21], v[40:41]
	buffer_store_dword v38, off, s[60:63], 0 offset:864 ; 4-byte Folded Spill
	buffer_store_dword v39, off, s[60:63], 0 offset:868 ; 4-byte Folded Spill
	buffer_store_dword v40, off, s[60:63], 0 offset:872 ; 4-byte Folded Spill
	buffer_store_dword v41, off, s[60:63], 0 offset:876 ; 4-byte Folded Spill
	v_fma_f64 v[114:115], v[22:23], v[38:39], v[20:21]
	s_clause 0x1
	global_load_dwordx4 v[22:25], v[52:53], off offset:688
	global_load_dwordx4 v[26:29], v[52:53], off offset:672
	s_waitcnt vmcnt(0) lgkmcnt(1)
	v_mul_f64 v[20:21], v[18:19], v[28:29]
	v_fma_f64 v[126:127], v[16:17], v[26:27], -v[20:21]
	v_mul_f64 v[16:17], v[16:17], v[28:29]
	buffer_store_dword v26, off, s[60:63], 0 offset:944 ; 4-byte Folded Spill
	buffer_store_dword v27, off, s[60:63], 0 offset:948 ; 4-byte Folded Spill
	buffer_store_dword v28, off, s[60:63], 0 offset:952 ; 4-byte Folded Spill
	buffer_store_dword v29, off, s[60:63], 0 offset:956 ; 4-byte Folded Spill
	v_add_f64 v[20:21], v[208:209], -v[214:215]
	v_mul_f64 v[28:29], v[20:21], s[30:31]
	v_mul_f64 v[36:37], v[20:21], s[42:43]
	;; [unrolled: 1-line block ×5, first 2 shown]
	v_fma_f64 v[124:125], v[18:19], v[26:27], v[16:17]
	s_waitcnt lgkmcnt(0)
	v_mul_f64 v[16:17], v[6:7], v[24:25]
	v_add_f64 v[18:19], v[210:211], v[216:217]
	v_fma_f64 v[134:135], v[4:5], v[22:23], -v[16:17]
	v_mul_f64 v[4:5], v[4:5], v[24:25]
	buffer_store_dword v22, off, s[60:63], 0 offset:928 ; 4-byte Folded Spill
	buffer_store_dword v23, off, s[60:63], 0 offset:932 ; 4-byte Folded Spill
	;; [unrolled: 1-line block ×4, first 2 shown]
	v_add_f64 v[16:17], v[208:209], v[214:215]
	v_fma_f64 v[30:31], v[18:19], s[22:23], v[28:29]
	v_fma_f64 v[28:29], v[18:19], s[22:23], -v[28:29]
	v_fma_f64 v[38:39], v[18:19], s[20:21], v[36:37]
	v_fma_f64 v[36:37], v[18:19], s[20:21], -v[36:37]
	;; [unrolled: 2-line block ×4, first 2 shown]
	s_waitcnt_vscnt null, 0x0
	s_barrier
	buffer_gl0_inv
	v_add_f64 v[30:31], v[14:15], v[30:31]
	v_add_f64 v[28:29], v[14:15], v[28:29]
	;; [unrolled: 1-line block ×8, first 2 shown]
	v_fma_f64 v[132:133], v[6:7], v[22:23], v[4:5]
	v_add_f64 v[22:23], v[210:211], -v[216:217]
	v_add_f64 v[4:5], v[12:13], v[208:209]
	v_add_f64 v[6:7], v[14:15], v[210:211]
	v_fma_f64 v[210:211], v[18:19], s[28:29], v[20:21]
	v_mul_f64 v[24:25], v[22:23], s[30:31]
	v_mul_f64 v[32:33], v[22:23], s[42:43]
	;; [unrolled: 1-line block ×5, first 2 shown]
	v_add_f64 v[4:5], v[4:5], v[200:201]
	v_add_f64 v[6:7], v[6:7], v[158:159]
	;; [unrolled: 1-line block ×3, first 2 shown]
	v_fma_f64 v[26:27], v[16:17], s[22:23], -v[24:25]
	v_fma_f64 v[24:25], v[16:17], s[22:23], v[24:25]
	v_fma_f64 v[34:35], v[16:17], s[20:21], -v[32:33]
	v_fma_f64 v[32:33], v[16:17], s[20:21], v[32:33]
	v_fma_f64 v[42:43], v[16:17], s[0:1], -v[40:41]
	v_fma_f64 v[40:41], v[16:17], s[0:1], v[40:41]
	v_fma_f64 v[50:51], v[16:17], s[24:25], -v[48:49]
	v_fma_f64 v[48:49], v[16:17], s[24:25], v[48:49]
	v_fma_f64 v[208:209], v[16:17], s[28:29], -v[22:23]
	v_fma_f64 v[16:17], v[16:17], s[28:29], v[22:23]
	v_add_f64 v[4:5], v[4:5], v[156:157]
	v_add_f64 v[22:23], v[158:159], -v[206:207]
	v_add_f64 v[6:7], v[6:7], v[150:151]
	v_add_f64 v[26:27], v[12:13], v[26:27]
	;; [unrolled: 1-line block ×11, first 2 shown]
	v_fma_f64 v[16:17], v[18:19], s[28:29], -v[20:21]
	v_add_f64 v[4:5], v[4:5], v[148:149]
	v_add_f64 v[18:19], v[158:159], v[206:207]
	v_mul_f64 v[158:159], v[22:23], s[42:43]
	v_add_f64 v[20:21], v[200:201], -v[204:205]
	v_add_f64 v[6:7], v[6:7], v[140:141]
	v_add_f64 v[14:15], v[14:15], v[16:17]
	v_add_f64 v[16:17], v[200:201], v[204:205]
	v_add_f64 v[4:5], v[4:5], v[142:143]
	v_add_f64 v[6:7], v[6:7], v[136:137]
	v_fma_f64 v[200:201], v[16:17], s[20:21], -v[158:159]
	v_add_f64 v[4:5], v[4:5], v[144:145]
	v_fma_f64 v[158:159], v[16:17], s[20:21], v[158:159]
	v_add_f64 v[6:7], v[6:7], v[138:139]
	v_add_f64 v[26:27], v[200:201], v[26:27]
	v_mul_f64 v[200:201], v[20:21], s[42:43]
	v_add_f64 v[4:5], v[4:5], v[152:153]
	v_add_f64 v[24:25], v[158:159], v[24:25]
	;; [unrolled: 1-line block ×3, first 2 shown]
	v_fma_f64 v[158:159], v[18:19], s[20:21], -v[200:201]
	v_add_f64 v[4:5], v[4:5], v[202:203]
	v_add_f64 v[6:7], v[6:7], v[154:155]
	;; [unrolled: 1-line block ×3, first 2 shown]
	v_mul_f64 v[158:159], v[22:23], s[26:27]
	v_add_f64 v[4:5], v[4:5], v[204:205]
	v_fma_f64 v[204:205], v[18:19], s[20:21], v[200:201]
	v_add_f64 v[6:7], v[6:7], v[206:207]
	v_fma_f64 v[200:201], v[16:17], s[24:25], -v[158:159]
	v_fma_f64 v[158:159], v[16:17], s[24:25], v[158:159]
	v_add_f64 v[30:31], v[204:205], v[30:31]
	v_add_f64 v[4:5], v[4:5], v[214:215]
	v_add_f64 v[6:7], v[6:7], v[216:217]
	v_add_f64 v[34:35], v[200:201], v[34:35]
	v_mul_f64 v[200:201], v[20:21], s[26:27]
	v_add_f64 v[32:33], v[158:159], v[32:33]
	v_fma_f64 v[158:159], v[18:19], s[24:25], -v[200:201]
	v_fma_f64 v[204:205], v[18:19], s[24:25], v[200:201]
	v_add_f64 v[36:37], v[158:159], v[36:37]
	v_mul_f64 v[158:159], v[22:23], s[44:45]
	v_add_f64 v[38:39], v[204:205], v[38:39]
	v_fma_f64 v[200:201], v[16:17], s[28:29], -v[158:159]
	v_fma_f64 v[158:159], v[16:17], s[28:29], v[158:159]
	v_add_f64 v[42:43], v[200:201], v[42:43]
	;; [unrolled: 5-line block ×3, first 2 shown]
	v_mul_f64 v[158:159], v[22:23], s[40:41]
	v_mul_f64 v[22:23], v[22:23], s[38:39]
	v_add_f64 v[46:47], v[204:205], v[46:47]
	v_fma_f64 v[200:201], v[16:17], s[0:1], -v[158:159]
	v_fma_f64 v[158:159], v[16:17], s[0:1], v[158:159]
	v_add_f64 v[50:51], v[200:201], v[50:51]
	v_mul_f64 v[200:201], v[20:21], s[40:41]
	v_add_f64 v[48:49], v[158:159], v[48:49]
	v_mul_f64 v[20:21], v[20:21], s[38:39]
	v_fma_f64 v[158:159], v[18:19], s[0:1], -v[200:201]
	v_fma_f64 v[204:205], v[18:19], s[0:1], v[200:201]
	v_fma_f64 v[200:201], v[18:19], s[22:23], v[20:21]
	v_add_f64 v[52:53], v[158:159], v[52:53]
	v_fma_f64 v[158:159], v[16:17], s[22:23], -v[22:23]
	v_fma_f64 v[16:17], v[16:17], s[22:23], v[22:23]
	v_add_f64 v[22:23], v[150:151], -v[154:155]
	v_add_f64 v[54:55], v[204:205], v[54:55]
	v_add_f64 v[200:201], v[200:201], v[210:211]
	;; [unrolled: 1-line block ×4, first 2 shown]
	v_fma_f64 v[16:17], v[18:19], s[22:23], -v[20:21]
	v_add_f64 v[18:19], v[150:151], v[154:155]
	v_mul_f64 v[150:151], v[22:23], s[18:19]
	v_add_f64 v[20:21], v[156:157], -v[202:203]
	v_add_f64 v[14:15], v[16:17], v[14:15]
	v_add_f64 v[16:17], v[156:157], v[202:203]
	v_fma_f64 v[154:155], v[16:17], s[0:1], -v[150:151]
	v_fma_f64 v[150:151], v[16:17], s[0:1], v[150:151]
	v_add_f64 v[26:27], v[154:155], v[26:27]
	v_mul_f64 v[154:155], v[20:21], s[18:19]
	v_add_f64 v[24:25], v[150:151], v[24:25]
	v_fma_f64 v[150:151], v[18:19], s[0:1], -v[154:155]
	v_fma_f64 v[156:157], v[18:19], s[0:1], v[154:155]
	v_add_f64 v[28:29], v[150:151], v[28:29]
	v_mul_f64 v[150:151], v[22:23], s[44:45]
	;; [unrolled: 5-line block ×6, first 2 shown]
	v_mul_f64 v[22:23], v[22:23], s[26:27]
	v_add_f64 v[46:47], v[156:157], v[46:47]
	v_fma_f64 v[154:155], v[16:17], s[22:23], -v[150:151]
	v_fma_f64 v[150:151], v[16:17], s[22:23], v[150:151]
	v_add_f64 v[50:51], v[154:155], v[50:51]
	v_mul_f64 v[154:155], v[20:21], s[30:31]
	v_add_f64 v[48:49], v[150:151], v[48:49]
	v_mul_f64 v[20:21], v[20:21], s[26:27]
	v_fma_f64 v[150:151], v[18:19], s[22:23], -v[154:155]
	v_fma_f64 v[156:157], v[18:19], s[22:23], v[154:155]
	v_fma_f64 v[154:155], v[18:19], s[24:25], v[20:21]
	v_add_f64 v[52:53], v[150:151], v[52:53]
	v_fma_f64 v[150:151], v[16:17], s[24:25], -v[22:23]
	v_fma_f64 v[16:17], v[16:17], s[24:25], v[22:23]
	v_add_f64 v[22:23], v[140:141], -v[146:147]
	v_add_f64 v[54:55], v[156:157], v[54:55]
	v_add_f64 v[154:155], v[154:155], v[200:201]
	v_add_f64 v[150:151], v[150:151], v[158:159]
	v_add_f64 v[12:13], v[16:17], v[12:13]
	v_fma_f64 v[16:17], v[18:19], s[24:25], -v[20:21]
	v_add_f64 v[18:19], v[140:141], v[146:147]
	v_mul_f64 v[140:141], v[22:23], s[26:27]
	v_add_f64 v[20:21], v[148:149], -v[152:153]
	v_add_f64 v[14:15], v[16:17], v[14:15]
	v_add_f64 v[16:17], v[148:149], v[152:153]
	v_fma_f64 v[146:147], v[16:17], s[24:25], -v[140:141]
	v_fma_f64 v[140:141], v[16:17], s[24:25], v[140:141]
	v_add_f64 v[26:27], v[146:147], v[26:27]
	v_mul_f64 v[146:147], v[20:21], s[26:27]
	v_add_f64 v[24:25], v[140:141], v[24:25]
	v_fma_f64 v[140:141], v[18:19], s[24:25], -v[146:147]
	v_fma_f64 v[148:149], v[18:19], s[24:25], v[146:147]
	v_add_f64 v[28:29], v[140:141], v[28:29]
	v_mul_f64 v[140:141], v[22:23], s[40:41]
	v_add_f64 v[30:31], v[148:149], v[30:31]
	v_fma_f64 v[146:147], v[16:17], s[0:1], -v[140:141]
	v_add_f64 v[34:35], v[146:147], v[34:35]
	v_mul_f64 v[146:147], v[20:21], s[40:41]
	v_fma_f64 v[148:149], v[18:19], s[0:1], v[146:147]
	v_add_f64 v[148:149], v[148:149], v[38:39]
	v_fma_f64 v[38:39], v[16:17], s[0:1], v[140:141]
	v_add_f64 v[140:141], v[142:143], -v[144:145]
	v_add_f64 v[32:33], v[38:39], v[32:33]
	v_fma_f64 v[38:39], v[18:19], s[0:1], -v[146:147]
	v_add_f64 v[146:147], v[38:39], v[36:37]
	v_mul_f64 v[36:37], v[22:23], s[30:31]
	v_fma_f64 v[38:39], v[16:17], s[22:23], -v[36:37]
	v_fma_f64 v[36:37], v[16:17], s[22:23], v[36:37]
	v_add_f64 v[152:153], v[38:39], v[42:43]
	v_mul_f64 v[38:39], v[20:21], s[30:31]
	v_add_f64 v[158:159], v[36:37], v[40:41]
	v_mul_f64 v[40:41], v[22:23], s[34:35]
	v_mul_f64 v[22:23], v[22:23], s[36:37]
	v_fma_f64 v[42:43], v[18:19], s[22:23], v[38:39]
	v_fma_f64 v[36:37], v[18:19], s[22:23], -v[38:39]
	v_add_f64 v[156:157], v[42:43], v[46:47]
	v_mul_f64 v[42:43], v[20:21], s[34:35]
	v_add_f64 v[200:201], v[36:37], v[44:45]
	v_fma_f64 v[36:37], v[16:17], s[28:29], -v[40:41]
	v_fma_f64 v[40:41], v[16:17], s[28:29], v[40:41]
	v_fma_f64 v[44:45], v[16:17], s[20:21], -v[22:23]
	v_mul_f64 v[20:21], v[20:21], s[36:37]
	v_fma_f64 v[16:17], v[16:17], s[20:21], v[22:23]
	v_fma_f64 v[38:39], v[18:19], s[28:29], v[42:43]
	v_fma_f64 v[42:43], v[18:19], s[28:29], -v[42:43]
	v_add_f64 v[36:37], v[36:37], v[50:51]
	v_add_f64 v[40:41], v[40:41], v[48:49]
	v_add_f64 v[44:45], v[44:45], v[150:151]
	v_fma_f64 v[46:47], v[18:19], s[20:21], v[20:21]
	v_add_f64 v[48:49], v[16:17], v[12:13]
	v_fma_f64 v[12:13], v[18:19], s[20:21], -v[20:21]
	v_mul_f64 v[18:19], v[140:141], s[34:35]
	v_add_f64 v[38:39], v[38:39], v[54:55]
	v_add_f64 v[42:43], v[42:43], v[52:53]
	v_add_f64 v[52:53], v[136:137], v[138:139]
	v_add_f64 v[136:137], v[136:137], -v[138:139]
	v_add_f64 v[54:55], v[142:143], v[144:145]
	v_add_f64 v[46:47], v[46:47], v[154:155]
	;; [unrolled: 1-line block ×3, first 2 shown]
	v_fma_f64 v[14:15], v[52:53], s[28:29], v[18:19]
	v_mul_f64 v[16:17], v[136:137], s[34:35]
	v_mul_f64 v[138:139], v[136:137], s[36:37]
	v_fma_f64 v[18:19], v[52:53], s[28:29], -v[18:19]
	v_add_f64 v[14:15], v[14:15], v[30:31]
	v_fma_f64 v[12:13], v[54:55], s[28:29], -v[16:17]
	v_fma_f64 v[16:17], v[54:55], s[28:29], v[16:17]
	v_fma_f64 v[142:143], v[54:55], s[20:21], -v[138:139]
	v_fma_f64 v[138:139], v[54:55], s[20:21], v[138:139]
	v_add_f64 v[18:19], v[18:19], v[28:29]
	v_add_f64 v[12:13], v[12:13], v[26:27]
	v_add_f64 v[16:17], v[16:17], v[24:25]
	v_mul_f64 v[24:25], v[136:137], s[38:39]
	v_add_f64 v[36:37], v[142:143], v[36:37]
	v_mul_f64 v[142:143], v[140:141], s[36:37]
	v_add_f64 v[40:41], v[138:139], v[40:41]
	v_mul_f64 v[26:27], v[140:141], s[38:39]
	v_fma_f64 v[20:21], v[54:55], s[22:23], -v[24:25]
	v_fma_f64 v[24:25], v[54:55], s[22:23], v[24:25]
	v_fma_f64 v[138:139], v[52:53], s[20:21], -v[142:143]
	v_fma_f64 v[144:145], v[52:53], s[20:21], v[142:143]
	v_fma_f64 v[22:23], v[52:53], s[22:23], v[26:27]
	v_fma_f64 v[26:27], v[52:53], s[22:23], -v[26:27]
	v_add_f64 v[20:21], v[20:21], v[34:35]
	v_add_f64 v[24:25], v[24:25], v[32:33]
	v_mul_f64 v[32:33], v[136:137], s[26:27]
	v_mul_f64 v[136:137], v[136:137], s[18:19]
	v_add_f64 v[42:43], v[138:139], v[42:43]
	v_mul_f64 v[34:35], v[140:141], s[26:27]
	v_add_f64 v[38:39], v[144:145], v[38:39]
	v_add_f64 v[22:23], v[22:23], v[148:149]
	;; [unrolled: 1-line block ×3, first 2 shown]
	v_fma_f64 v[28:29], v[54:55], s[24:25], -v[32:33]
	v_fma_f64 v[32:33], v[54:55], s[24:25], v[32:33]
	v_fma_f64 v[138:139], v[54:55], s[0:1], -v[136:137]
	v_fma_f64 v[54:55], v[54:55], s[0:1], v[136:137]
	v_fma_f64 v[30:31], v[52:53], s[24:25], v[34:35]
	v_fma_f64 v[34:35], v[52:53], s[24:25], -v[34:35]
	v_add_f64 v[136:137], v[92:93], v[94:95]
	v_add_f64 v[28:29], v[28:29], v[152:153]
	;; [unrolled: 1-line block ×4, first 2 shown]
	v_mul_f64 v[138:139], v[140:141], s[18:19]
	v_add_f64 v[48:49], v[54:55], v[48:49]
	v_add_f64 v[54:55], v[10:11], v[90:91]
	v_add_f64 v[34:35], v[34:35], v[200:201]
	v_add_f64 v[30:31], v[30:31], v[156:157]
	v_fma_f64 v[140:141], v[52:53], s[0:1], v[138:139]
	v_fma_f64 v[52:53], v[52:53], s[0:1], -v[138:139]
	v_add_f64 v[54:55], v[54:55], v[86:87]
	v_add_f64 v[138:139], v[90:91], v[58:59]
	;; [unrolled: 1-line block ×6, first 2 shown]
	v_add_f64 v[92:93], v[92:93], -v[94:95]
	v_add_f64 v[52:53], v[52:53], v[88:89]
	v_add_f64 v[54:55], v[54:55], v[78:79]
	v_mul_f64 v[140:141], v[92:93], s[30:31]
	v_mul_f64 v[148:149], v[92:93], s[42:43]
	;; [unrolled: 1-line block ×5, first 2 shown]
	v_add_f64 v[52:53], v[52:53], v[84:85]
	v_add_f64 v[54:55], v[54:55], v[72:73]
	v_fma_f64 v[142:143], v[138:139], s[22:23], v[140:141]
	v_fma_f64 v[140:141], v[138:139], s[22:23], -v[140:141]
	v_fma_f64 v[150:151], v[138:139], s[20:21], v[148:149]
	v_fma_f64 v[148:149], v[138:139], s[20:21], -v[148:149]
	v_fma_f64 v[158:159], v[138:139], s[0:1], v[156:157]
	v_fma_f64 v[156:157], v[138:139], s[0:1], -v[156:157]
	v_fma_f64 v[206:207], v[138:139], s[24:25], v[204:205]
	v_fma_f64 v[204:205], v[138:139], s[24:25], -v[204:205]
	v_fma_f64 v[210:211], v[138:139], s[28:29], v[92:93]
	v_add_f64 v[52:53], v[52:53], v[80:81]
	v_add_f64 v[54:55], v[54:55], v[68:69]
	v_add_f64 v[142:143], v[10:11], v[142:143]
	v_add_f64 v[140:141], v[10:11], v[140:141]
	v_add_f64 v[150:151], v[10:11], v[150:151]
	v_add_f64 v[148:149], v[10:11], v[148:149]
	v_add_f64 v[158:159], v[10:11], v[158:159]
	v_add_f64 v[156:157], v[10:11], v[156:157]
	v_add_f64 v[206:207], v[10:11], v[206:207]
	v_add_f64 v[204:205], v[10:11], v[204:205]
	v_add_f64 v[210:211], v[10:11], v[210:211]
	v_add_f64 v[52:53], v[52:53], v[76:77]
	v_add_f64 v[54:55], v[54:55], v[64:65]
	v_add_f64 v[52:53], v[52:53], v[74:75]
	v_add_f64 v[54:55], v[54:55], v[60:61]
	v_add_f64 v[52:53], v[52:53], v[70:71]
	v_add_f64 v[54:55], v[54:55], v[56:57]
	v_add_f64 v[52:53], v[52:53], v[66:67]
	v_add_f64 v[54:55], v[54:55], v[58:59]
	v_add_f64 v[58:59], v[90:91], -v[58:59]
	v_add_f64 v[52:53], v[52:53], v[62:63]
	v_mul_f64 v[90:91], v[58:59], s[30:31]
	v_mul_f64 v[144:145], v[58:59], s[42:43]
	;; [unrolled: 1-line block ×5, first 2 shown]
	v_add_f64 v[52:53], v[52:53], v[94:95]
	v_fma_f64 v[94:95], v[136:137], s[22:23], -v[90:91]
	v_fma_f64 v[90:91], v[136:137], s[22:23], v[90:91]
	v_fma_f64 v[146:147], v[136:137], s[20:21], -v[144:145]
	v_fma_f64 v[144:145], v[136:137], s[20:21], v[144:145]
	;; [unrolled: 2-line block ×5, first 2 shown]
	v_add_f64 v[94:95], v[8:9], v[94:95]
	v_add_f64 v[90:91], v[8:9], v[90:91]
	;; [unrolled: 1-line block ×10, first 2 shown]
	v_fma_f64 v[58:59], v[138:139], s[28:29], -v[92:93]
	v_add_f64 v[92:93], v[86:87], v[56:57]
	v_add_f64 v[56:57], v[86:87], -v[56:57]
	v_add_f64 v[10:11], v[10:11], v[58:59]
	v_add_f64 v[58:59], v[88:89], v[62:63]
	v_mul_f64 v[86:87], v[56:57], s[42:43]
	v_add_f64 v[62:63], v[88:89], -v[62:63]
	v_fma_f64 v[88:89], v[58:59], s[20:21], -v[86:87]
	v_fma_f64 v[86:87], v[58:59], s[20:21], v[86:87]
	v_add_f64 v[88:89], v[88:89], v[94:95]
	v_mul_f64 v[94:95], v[62:63], s[42:43]
	v_add_f64 v[86:87], v[86:87], v[90:91]
	v_fma_f64 v[136:137], v[92:93], s[20:21], v[94:95]
	v_fma_f64 v[90:91], v[92:93], s[20:21], -v[94:95]
	v_mul_f64 v[94:95], v[56:57], s[26:27]
	v_add_f64 v[136:137], v[136:137], v[142:143]
	v_add_f64 v[90:91], v[90:91], v[140:141]
	v_fma_f64 v[138:139], v[58:59], s[24:25], -v[94:95]
	v_fma_f64 v[94:95], v[58:59], s[24:25], v[94:95]
	v_mul_f64 v[140:141], v[62:63], s[26:27]
	v_add_f64 v[138:139], v[138:139], v[146:147]
	v_add_f64 v[94:95], v[94:95], v[144:145]
	v_mul_f64 v[144:145], v[56:57], s[44:45]
	v_fma_f64 v[142:143], v[92:93], s[24:25], v[140:141]
	v_fma_f64 v[140:141], v[92:93], s[24:25], -v[140:141]
	v_fma_f64 v[146:147], v[58:59], s[28:29], -v[144:145]
	v_fma_f64 v[144:145], v[58:59], s[28:29], v[144:145]
	v_add_f64 v[140:141], v[140:141], v[148:149]
	v_mul_f64 v[148:149], v[62:63], s[44:45]
	v_add_f64 v[142:143], v[142:143], v[150:151]
	v_add_f64 v[146:147], v[146:147], v[154:155]
	;; [unrolled: 1-line block ×3, first 2 shown]
	v_mul_f64 v[152:153], v[56:57], s[40:41]
	v_fma_f64 v[150:151], v[92:93], s[28:29], v[148:149]
	v_fma_f64 v[148:149], v[92:93], s[28:29], -v[148:149]
	v_mul_f64 v[56:57], v[56:57], s[38:39]
	v_fma_f64 v[154:155], v[58:59], s[0:1], -v[152:153]
	v_fma_f64 v[152:153], v[58:59], s[0:1], v[152:153]
	v_add_f64 v[148:149], v[148:149], v[156:157]
	v_mul_f64 v[156:157], v[62:63], s[40:41]
	v_mul_f64 v[62:63], v[62:63], s[38:39]
	v_add_f64 v[150:151], v[150:151], v[158:159]
	v_add_f64 v[154:155], v[154:155], v[202:203]
	;; [unrolled: 1-line block ×3, first 2 shown]
	v_fma_f64 v[200:201], v[58:59], s[22:23], -v[56:57]
	v_fma_f64 v[56:57], v[58:59], s[22:23], v[56:57]
	v_add_f64 v[58:59], v[82:83], v[60:61]
	v_add_f64 v[60:61], v[82:83], -v[60:61]
	v_fma_f64 v[202:203], v[92:93], s[22:23], v[62:63]
	v_fma_f64 v[158:159], v[92:93], s[0:1], v[156:157]
	v_fma_f64 v[156:157], v[92:93], s[0:1], -v[156:157]
	v_add_f64 v[200:201], v[200:201], v[208:209]
	v_add_f64 v[8:9], v[56:57], v[8:9]
	v_fma_f64 v[56:57], v[92:93], s[22:23], -v[62:63]
	v_add_f64 v[62:63], v[84:85], -v[66:67]
	v_add_f64 v[202:203], v[202:203], v[210:211]
	v_add_f64 v[158:159], v[158:159], v[206:207]
	;; [unrolled: 1-line block ×5, first 2 shown]
	v_mul_f64 v[66:67], v[60:61], s[18:19]
	v_mul_f64 v[84:85], v[62:63], s[18:19]
	;; [unrolled: 1-line block ×3, first 2 shown]
	v_fma_f64 v[82:83], v[56:57], s[0:1], -v[66:67]
	v_fma_f64 v[66:67], v[56:57], s[0:1], v[66:67]
	v_add_f64 v[82:83], v[82:83], v[88:89]
	v_fma_f64 v[88:89], v[58:59], s[0:1], v[84:85]
	v_add_f64 v[66:67], v[66:67], v[86:87]
	v_fma_f64 v[84:85], v[58:59], s[0:1], -v[84:85]
	v_mul_f64 v[86:87], v[60:61], s[44:45]
	v_add_f64 v[88:89], v[88:89], v[136:137]
	v_fma_f64 v[136:137], v[58:59], s[28:29], v[92:93]
	v_add_f64 v[84:85], v[84:85], v[90:91]
	v_fma_f64 v[90:91], v[56:57], s[28:29], -v[86:87]
	v_fma_f64 v[86:87], v[56:57], s[28:29], v[86:87]
	v_fma_f64 v[92:93], v[58:59], s[28:29], -v[92:93]
	v_add_f64 v[136:137], v[136:137], v[142:143]
	v_add_f64 v[90:91], v[90:91], v[138:139]
	;; [unrolled: 1-line block ×3, first 2 shown]
	v_mul_f64 v[94:95], v[60:61], s[36:37]
	v_add_f64 v[92:93], v[92:93], v[140:141]
	v_mul_f64 v[140:141], v[62:63], s[36:37]
	v_fma_f64 v[138:139], v[56:57], s[20:21], -v[94:95]
	v_fma_f64 v[94:95], v[56:57], s[20:21], v[94:95]
	v_fma_f64 v[142:143], v[58:59], s[20:21], v[140:141]
	v_fma_f64 v[140:141], v[58:59], s[20:21], -v[140:141]
	v_add_f64 v[138:139], v[138:139], v[146:147]
	v_add_f64 v[94:95], v[94:95], v[144:145]
	v_mul_f64 v[144:145], v[60:61], s[30:31]
	v_mul_f64 v[60:61], v[60:61], s[26:27]
	v_add_f64 v[140:141], v[140:141], v[148:149]
	v_mul_f64 v[148:149], v[62:63], s[30:31]
	v_mul_f64 v[62:63], v[62:63], s[26:27]
	v_add_f64 v[142:143], v[142:143], v[150:151]
	v_fma_f64 v[146:147], v[56:57], s[22:23], -v[144:145]
	v_fma_f64 v[144:145], v[56:57], s[22:23], v[144:145]
	v_fma_f64 v[150:151], v[58:59], s[22:23], v[148:149]
	v_fma_f64 v[148:149], v[58:59], s[22:23], -v[148:149]
	v_add_f64 v[146:147], v[146:147], v[154:155]
	v_add_f64 v[144:145], v[144:145], v[152:153]
	v_fma_f64 v[152:153], v[56:57], s[24:25], -v[60:61]
	v_fma_f64 v[56:57], v[56:57], s[24:25], v[60:61]
	v_fma_f64 v[154:155], v[58:59], s[24:25], v[62:63]
	v_add_f64 v[60:61], v[80:81], -v[70:71]
	v_add_f64 v[148:149], v[148:149], v[156:157]
	v_add_f64 v[150:151], v[150:151], v[158:159]
	;; [unrolled: 1-line block ×4, first 2 shown]
	v_fma_f64 v[56:57], v[58:59], s[24:25], -v[62:63]
	v_add_f64 v[62:63], v[78:79], -v[64:65]
	v_add_f64 v[58:59], v[78:79], v[64:65]
	v_mul_f64 v[78:79], v[60:61], s[26:27]
	v_add_f64 v[154:155], v[154:155], v[202:203]
	v_add_f64 v[10:11], v[56:57], v[10:11]
	;; [unrolled: 1-line block ×3, first 2 shown]
	v_mul_f64 v[64:65], v[62:63], s[26:27]
	v_fma_f64 v[80:81], v[58:59], s[24:25], v[78:79]
	v_fma_f64 v[70:71], v[56:57], s[24:25], -v[64:65]
	v_fma_f64 v[64:65], v[56:57], s[24:25], v[64:65]
	v_add_f64 v[156:157], v[80:81], v[88:89]
	v_add_f64 v[70:71], v[70:71], v[82:83]
	;; [unrolled: 1-line block ×3, first 2 shown]
	v_fma_f64 v[66:67], v[58:59], s[24:25], -v[78:79]
	v_mul_f64 v[78:79], v[62:63], s[40:41]
	v_add_f64 v[66:67], v[66:67], v[84:85]
	v_fma_f64 v[80:81], v[56:57], s[0:1], -v[78:79]
	v_fma_f64 v[78:79], v[56:57], s[0:1], v[78:79]
	v_add_f64 v[158:159], v[80:81], v[90:91]
	v_mul_f64 v[80:81], v[60:61], s[40:41]
	v_add_f64 v[202:203], v[78:79], v[86:87]
	v_add_f64 v[90:91], v[72:73], v[68:69]
	v_fma_f64 v[78:79], v[58:59], s[0:1], -v[80:81]
	v_fma_f64 v[82:83], v[58:59], s[0:1], v[80:81]
	v_add_f64 v[204:205], v[78:79], v[92:93]
	v_mul_f64 v[78:79], v[62:63], s[30:31]
	v_add_f64 v[200:201], v[82:83], v[136:137]
	v_add_f64 v[136:137], v[76:77], -v[74:75]
	v_fma_f64 v[80:81], v[56:57], s[22:23], -v[78:79]
	v_fma_f64 v[78:79], v[56:57], s[22:23], v[78:79]
	v_add_f64 v[206:207], v[80:81], v[138:139]
	v_mul_f64 v[80:81], v[60:61], s[30:31]
	v_add_f64 v[208:209], v[78:79], v[94:95]
	v_add_f64 v[94:95], v[76:77], v[74:75]
	v_mul_f64 v[74:75], v[136:137], s[26:27]
	v_fma_f64 v[82:83], v[58:59], s[22:23], v[80:81]
	v_fma_f64 v[78:79], v[58:59], s[22:23], -v[80:81]
	v_mul_f64 v[80:81], v[62:63], s[34:35]
	v_mul_f64 v[62:63], v[62:63], s[36:37]
	v_add_f64 v[142:143], v[82:83], v[142:143]
	v_add_f64 v[140:141], v[78:79], v[140:141]
	v_fma_f64 v[78:79], v[56:57], s[28:29], -v[80:81]
	v_fma_f64 v[80:81], v[56:57], s[28:29], v[80:81]
	v_mul_f64 v[82:83], v[60:61], s[34:35]
	v_fma_f64 v[84:85], v[56:57], s[20:21], -v[62:63]
	v_mul_f64 v[60:61], v[60:61], s[36:37]
	v_fma_f64 v[56:57], v[56:57], s[20:21], v[62:63]
	v_add_f64 v[138:139], v[78:79], v[146:147]
	v_add_f64 v[80:81], v[80:81], v[144:145]
	v_add_f64 v[144:145], v[72:73], -v[68:69]
	v_fma_f64 v[78:79], v[58:59], s[28:29], v[82:83]
	v_fma_f64 v[82:83], v[58:59], s[28:29], -v[82:83]
	v_add_f64 v[92:93], v[56:57], v[8:9]
	v_fma_f64 v[8:9], v[58:59], s[20:21], -v[60:61]
	v_fma_f64 v[86:87], v[58:59], s[20:21], v[60:61]
	v_mul_f64 v[58:59], v[136:137], s[34:35]
	v_add_f64 v[84:85], v[84:85], v[152:153]
	v_mul_f64 v[56:57], v[144:145], s[34:35]
	v_mul_f64 v[72:73], v[144:145], s[26:27]
	v_add_f64 v[82:83], v[82:83], v[148:149]
	v_add_f64 v[78:79], v[78:79], v[150:151]
	;; [unrolled: 1-line block ×4, first 2 shown]
	v_fma_f64 v[10:11], v[90:91], s[28:29], v[58:59]
	v_fma_f64 v[58:59], v[90:91], s[28:29], -v[58:59]
	v_fma_f64 v[8:9], v[94:95], s[28:29], -v[56:57]
	v_fma_f64 v[56:57], v[94:95], s[28:29], v[56:57]
	v_fma_f64 v[68:69], v[94:95], s[24:25], -v[72:73]
	v_fma_f64 v[72:73], v[94:95], s[24:25], v[72:73]
	v_add_f64 v[10:11], v[10:11], v[156:157]
	v_add_f64 v[58:59], v[58:59], v[66:67]
	v_mul_f64 v[66:67], v[136:137], s[38:39]
	v_add_f64 v[8:9], v[8:9], v[70:71]
	v_fma_f64 v[70:71], v[90:91], s[24:25], v[74:75]
	v_fma_f64 v[74:75], v[90:91], s[24:25], -v[74:75]
	v_add_f64 v[56:57], v[56:57], v[64:65]
	v_mul_f64 v[64:65], v[144:145], s[38:39]
	v_add_f64 v[72:73], v[72:73], v[208:209]
	v_add_f64 v[68:69], v[68:69], v[206:207]
	v_fma_f64 v[62:63], v[90:91], s[22:23], v[66:67]
	v_fma_f64 v[66:67], v[90:91], s[22:23], -v[66:67]
	v_add_f64 v[70:71], v[70:71], v[142:143]
	v_add_f64 v[74:75], v[74:75], v[140:141]
	v_mul_f64 v[140:141], v[144:145], s[36:37]
	v_fma_f64 v[60:61], v[94:95], s[22:23], -v[64:65]
	v_fma_f64 v[64:65], v[94:95], s[22:23], v[64:65]
	v_add_f64 v[62:63], v[62:63], v[200:201]
	v_add_f64 v[66:67], v[66:67], v[204:205]
	v_fma_f64 v[76:77], v[94:95], s[20:21], -v[140:141]
	v_fma_f64 v[140:141], v[94:95], s[20:21], v[140:141]
	v_add_f64 v[64:65], v[64:65], v[202:203]
	v_add_f64 v[60:61], v[60:61], v[158:159]
	;; [unrolled: 1-line block ×3, first 2 shown]
	v_mul_f64 v[138:139], v[136:137], s[36:37]
	v_add_f64 v[80:81], v[140:141], v[80:81]
	v_mul_f64 v[136:137], v[136:137], s[18:19]
	v_fma_f64 v[142:143], v[90:91], s[20:21], v[138:139]
	v_fma_f64 v[138:139], v[90:91], s[20:21], -v[138:139]
	v_add_f64 v[78:79], v[142:143], v[78:79]
	v_add_f64 v[82:83], v[138:139], v[82:83]
	v_mul_f64 v[138:139], v[144:145], s[18:19]
	v_fma_f64 v[140:141], v[94:95], s[0:1], -v[138:139]
	v_fma_f64 v[94:95], v[94:95], s[0:1], v[138:139]
	v_add_f64 v[138:139], v[128:129], v[132:133]
	v_add_f64 v[84:85], v[140:141], v[84:85]
	v_fma_f64 v[140:141], v[90:91], s[0:1], v[136:137]
	v_fma_f64 v[90:91], v[90:91], s[0:1], -v[136:137]
	v_add_f64 v[92:93], v[94:95], v[92:93]
	v_add_f64 v[136:137], v[130:131], v[134:135]
	;; [unrolled: 1-line block ×6, first 2 shown]
	v_add_f64 v[128:129], v[128:129], -v[132:133]
	v_add_f64 v[130:131], v[130:131], -v[134:135]
	ds_write_b128 v244, v[4:7]
	ds_write_b128 v244, v[12:15] offset:816
	ds_write_b128 v244, v[20:23] offset:1632
	ds_write_b128 v244, v[28:31] offset:2448
	ds_write_b128 v244, v[36:39] offset:3264
	ds_write_b128 v244, v[44:47] offset:4080
	ds_write_b128 v244, v[48:51] offset:4896
	ds_write_b128 v244, v[40:43] offset:5712
	ds_write_b128 v244, v[32:35] offset:6528
	ds_write_b128 v244, v[24:27] offset:7344
	ds_write_b128 v244, v[16:19] offset:8160
	ds_write_b128 v244, v[52:55] offset:8976
	ds_write_b128 v244, v[8:11] offset:9792
	ds_write_b128 v244, v[60:63] offset:10608
	ds_write_b128 v244, v[68:71] offset:11424
	ds_write_b128 v244, v[76:79] offset:12240
	ds_write_b128 v244, v[84:87] offset:13056
	ds_write_b128 v244, v[92:95] offset:13872
	ds_write_b128 v244, v[80:83] offset:14688
	ds_write_b128 v244, v[72:75] offset:15504
	ds_write_b128 v244, v[64:67] offset:16320
	ds_write_b128 v244, v[56:59] offset:17136
	v_add_f64 v[90:91], v[90:91], v[118:119]
	v_add_f64 v[88:89], v[88:89], v[120:121]
	v_mul_f64 v[144:145], v[128:129], s[42:43]
	v_mul_f64 v[152:153], v[128:129], s[18:19]
	;; [unrolled: 1-line block ×8, first 2 shown]
	v_add_f64 v[90:91], v[90:91], v[110:111]
	v_add_f64 v[88:89], v[88:89], v[116:117]
	v_fma_f64 v[146:147], v[136:137], s[20:21], -v[144:145]
	v_fma_f64 v[144:145], v[136:137], s[20:21], v[144:145]
	v_fma_f64 v[154:155], v[136:137], s[0:1], -v[152:153]
	v_fma_f64 v[152:153], v[136:137], s[0:1], v[152:153]
	;; [unrolled: 2-line block ×3, first 2 shown]
	v_fma_f64 v[142:143], v[138:139], s[22:23], v[140:141]
	v_fma_f64 v[140:141], v[138:139], s[22:23], -v[140:141]
	v_fma_f64 v[150:151], v[138:139], s[20:21], v[148:149]
	v_fma_f64 v[148:149], v[138:139], s[20:21], -v[148:149]
	;; [unrolled: 2-line block ×4, first 2 shown]
	v_fma_f64 v[210:211], v[138:139], s[28:29], v[130:131]
	v_add_f64 v[90:91], v[90:91], v[104:105]
	v_add_f64 v[88:89], v[88:89], v[108:109]
	;; [unrolled: 1-line block ×28, first 2 shown]
	v_mul_f64 v[132:133], v[128:129], s[30:31]
	v_mul_f64 v[128:129], v[128:129], s[34:35]
	v_add_f64 v[88:89], v[88:89], v[134:135]
	v_fma_f64 v[134:135], v[136:137], s[22:23], -v[132:133]
	v_fma_f64 v[132:133], v[136:137], s[22:23], v[132:133]
	v_fma_f64 v[208:209], v[136:137], s[28:29], -v[128:129]
	v_fma_f64 v[128:129], v[136:137], s[28:29], v[128:129]
	v_add_f64 v[134:135], v[0:1], v[134:135]
	v_add_f64 v[132:133], v[0:1], v[132:133]
	;; [unrolled: 1-line block ×4, first 2 shown]
	v_fma_f64 v[128:129], v[138:139], s[28:29], -v[130:131]
	v_add_f64 v[130:131], v[118:119], v[124:125]
	v_add_f64 v[118:119], v[118:119], -v[124:125]
	v_add_f64 v[2:3], v[2:3], v[128:129]
	v_add_f64 v[128:129], v[120:121], v[126:127]
	v_mul_f64 v[124:125], v[118:119], s[42:43]
	v_add_f64 v[120:121], v[120:121], -v[126:127]
	v_fma_f64 v[126:127], v[128:129], s[20:21], -v[124:125]
	v_fma_f64 v[124:125], v[128:129], s[20:21], v[124:125]
	v_add_f64 v[126:127], v[126:127], v[134:135]
	v_mul_f64 v[134:135], v[120:121], s[42:43]
	v_add_f64 v[124:125], v[124:125], v[132:133]
	v_fma_f64 v[136:137], v[130:131], s[20:21], v[134:135]
	v_fma_f64 v[132:133], v[130:131], s[20:21], -v[134:135]
	v_mul_f64 v[134:135], v[118:119], s[26:27]
	v_add_f64 v[136:137], v[136:137], v[142:143]
	v_add_f64 v[132:133], v[132:133], v[140:141]
	v_fma_f64 v[138:139], v[128:129], s[24:25], -v[134:135]
	v_fma_f64 v[134:135], v[128:129], s[24:25], v[134:135]
	v_mul_f64 v[140:141], v[120:121], s[26:27]
	v_add_f64 v[138:139], v[138:139], v[146:147]
	v_add_f64 v[134:135], v[134:135], v[144:145]
	v_mul_f64 v[144:145], v[118:119], s[44:45]
	v_fma_f64 v[142:143], v[130:131], s[24:25], v[140:141]
	v_fma_f64 v[140:141], v[130:131], s[24:25], -v[140:141]
	v_fma_f64 v[146:147], v[128:129], s[28:29], -v[144:145]
	v_fma_f64 v[144:145], v[128:129], s[28:29], v[144:145]
	v_add_f64 v[140:141], v[140:141], v[148:149]
	v_mul_f64 v[148:149], v[120:121], s[44:45]
	v_add_f64 v[142:143], v[142:143], v[150:151]
	v_add_f64 v[146:147], v[146:147], v[154:155]
	;; [unrolled: 1-line block ×3, first 2 shown]
	v_mul_f64 v[152:153], v[118:119], s[40:41]
	v_fma_f64 v[150:151], v[130:131], s[28:29], v[148:149]
	v_fma_f64 v[148:149], v[130:131], s[28:29], -v[148:149]
	v_mul_f64 v[118:119], v[118:119], s[38:39]
	v_fma_f64 v[154:155], v[128:129], s[0:1], -v[152:153]
	v_fma_f64 v[152:153], v[128:129], s[0:1], v[152:153]
	v_add_f64 v[148:149], v[148:149], v[156:157]
	v_mul_f64 v[156:157], v[120:121], s[40:41]
	v_mul_f64 v[120:121], v[120:121], s[38:39]
	v_add_f64 v[150:151], v[150:151], v[158:159]
	v_add_f64 v[154:155], v[154:155], v[202:203]
	v_add_f64 v[152:153], v[152:153], v[200:201]
	v_fma_f64 v[200:201], v[128:129], s[22:23], -v[118:119]
	v_fma_f64 v[118:119], v[128:129], s[22:23], v[118:119]
	v_fma_f64 v[202:203], v[130:131], s[22:23], v[120:121]
	;; [unrolled: 1-line block ×3, first 2 shown]
	v_fma_f64 v[156:157], v[130:131], s[0:1], -v[156:157]
	v_add_f64 v[200:201], v[200:201], v[208:209]
	v_add_f64 v[0:1], v[118:119], v[0:1]
	v_fma_f64 v[118:119], v[130:131], s[22:23], -v[120:121]
	v_add_f64 v[120:121], v[110:111], v[114:115]
	v_add_f64 v[110:111], v[110:111], -v[114:115]
	v_add_f64 v[156:157], v[156:157], v[204:205]
	v_add_f64 v[202:203], v[202:203], v[210:211]
	;; [unrolled: 1-line block ×5, first 2 shown]
	v_mul_f64 v[114:115], v[110:111], s[18:19]
	v_add_f64 v[116:117], v[116:117], -v[122:123]
	v_fma_f64 v[122:123], v[118:119], s[0:1], -v[114:115]
	v_fma_f64 v[114:115], v[118:119], s[0:1], v[114:115]
	v_add_f64 v[122:123], v[122:123], v[126:127]
	v_mul_f64 v[126:127], v[116:117], s[18:19]
	v_add_f64 v[114:115], v[114:115], v[124:125]
	v_fma_f64 v[128:129], v[120:121], s[0:1], v[126:127]
	v_fma_f64 v[124:125], v[120:121], s[0:1], -v[126:127]
	v_mul_f64 v[126:127], v[110:111], s[44:45]
	v_add_f64 v[128:129], v[128:129], v[136:137]
	v_add_f64 v[124:125], v[124:125], v[132:133]
	v_fma_f64 v[130:131], v[118:119], s[28:29], -v[126:127]
	v_fma_f64 v[126:127], v[118:119], s[28:29], v[126:127]
	v_mul_f64 v[132:133], v[116:117], s[44:45]
	v_add_f64 v[130:131], v[130:131], v[138:139]
	v_add_f64 v[126:127], v[126:127], v[134:135]
	v_mul_f64 v[134:135], v[110:111], s[36:37]
	v_fma_f64 v[136:137], v[120:121], s[28:29], v[132:133]
	v_fma_f64 v[132:133], v[120:121], s[28:29], -v[132:133]
	v_fma_f64 v[138:139], v[118:119], s[20:21], -v[134:135]
	v_fma_f64 v[134:135], v[118:119], s[20:21], v[134:135]
	v_add_f64 v[132:133], v[132:133], v[140:141]
	v_mul_f64 v[140:141], v[116:117], s[36:37]
	v_add_f64 v[136:137], v[136:137], v[142:143]
	v_add_f64 v[138:139], v[138:139], v[146:147]
	;; [unrolled: 1-line block ×3, first 2 shown]
	v_mul_f64 v[144:145], v[110:111], s[30:31]
	v_fma_f64 v[142:143], v[120:121], s[20:21], v[140:141]
	v_fma_f64 v[140:141], v[120:121], s[20:21], -v[140:141]
	v_mul_f64 v[110:111], v[110:111], s[26:27]
	v_fma_f64 v[146:147], v[118:119], s[22:23], -v[144:145]
	v_fma_f64 v[144:145], v[118:119], s[22:23], v[144:145]
	v_add_f64 v[140:141], v[140:141], v[148:149]
	v_mul_f64 v[148:149], v[116:117], s[30:31]
	v_mul_f64 v[116:117], v[116:117], s[26:27]
	v_add_f64 v[142:143], v[142:143], v[150:151]
	v_add_f64 v[146:147], v[146:147], v[154:155]
	;; [unrolled: 1-line block ×3, first 2 shown]
	v_fma_f64 v[152:153], v[118:119], s[24:25], -v[110:111]
	v_fma_f64 v[110:111], v[118:119], s[24:25], v[110:111]
	v_fma_f64 v[150:151], v[120:121], s[22:23], v[148:149]
	v_fma_f64 v[148:149], v[120:121], s[22:23], -v[148:149]
	v_fma_f64 v[154:155], v[120:121], s[24:25], v[116:117]
	v_add_f64 v[152:153], v[152:153], v[200:201]
	v_add_f64 v[0:1], v[110:111], v[0:1]
	v_fma_f64 v[110:111], v[120:121], s[24:25], -v[116:117]
	v_add_f64 v[120:121], v[104:105], v[106:107]
	v_add_f64 v[104:105], v[104:105], -v[106:107]
	v_add_f64 v[148:149], v[148:149], v[156:157]
	v_add_f64 v[154:155], v[154:155], v[202:203]
	v_add_f64 v[150:151], v[150:151], v[158:159]
	v_add_f64 v[2:3], v[110:111], v[2:3]
	v_add_f64 v[110:111], v[108:109], v[112:113]
	v_mul_f64 v[106:107], v[104:105], s[26:27]
	v_add_f64 v[108:109], v[108:109], -v[112:113]
	v_fma_f64 v[112:113], v[110:111], s[24:25], -v[106:107]
	v_fma_f64 v[106:107], v[110:111], s[24:25], v[106:107]
	v_add_f64 v[156:157], v[112:113], v[122:123]
	v_mul_f64 v[112:113], v[108:109], s[26:27]
	v_add_f64 v[106:107], v[106:107], v[114:115]
	v_fma_f64 v[116:117], v[120:121], s[24:25], v[112:113]
	v_fma_f64 v[112:113], v[120:121], s[24:25], -v[112:113]
	v_add_f64 v[158:159], v[116:117], v[128:129]
	v_add_f64 v[200:201], v[112:113], v[124:125]
	v_mul_f64 v[112:113], v[104:105], s[40:41]
	v_fma_f64 v[114:115], v[110:111], s[0:1], -v[112:113]
	v_fma_f64 v[112:113], v[110:111], s[0:1], v[112:113]
	v_add_f64 v[130:131], v[114:115], v[130:131]
	v_mul_f64 v[114:115], v[108:109], s[40:41]
	v_add_f64 v[202:203], v[112:113], v[126:127]
	v_fma_f64 v[112:113], v[120:121], s[0:1], -v[114:115]
	v_fma_f64 v[116:117], v[120:121], s[0:1], v[114:115]
	v_add_f64 v[132:133], v[112:113], v[132:133]
	v_mul_f64 v[112:113], v[104:105], s[30:31]
	v_add_f64 v[136:137], v[116:117], v[136:137]
	v_fma_f64 v[114:115], v[110:111], s[22:23], -v[112:113]
	v_fma_f64 v[112:113], v[110:111], s[22:23], v[112:113]
	v_add_f64 v[138:139], v[114:115], v[138:139]
	v_mul_f64 v[114:115], v[108:109], s[30:31]
	v_add_f64 v[134:135], v[112:113], v[134:135]
	v_fma_f64 v[112:113], v[120:121], s[22:23], -v[114:115]
	v_fma_f64 v[116:117], v[120:121], s[22:23], v[114:115]
	v_add_f64 v[140:141], v[112:113], v[140:141]
	v_mul_f64 v[112:113], v[104:105], s[34:35]
	v_mul_f64 v[104:105], v[104:105], s[36:37]
	v_add_f64 v[142:143], v[116:117], v[142:143]
	v_fma_f64 v[114:115], v[110:111], s[28:29], -v[112:113]
	v_fma_f64 v[112:113], v[110:111], s[28:29], v[112:113]
	v_add_f64 v[128:129], v[114:115], v[146:147]
	v_mul_f64 v[114:115], v[108:109], s[34:35]
	v_add_f64 v[124:125], v[112:113], v[144:145]
	v_mul_f64 v[108:109], v[108:109], s[36:37]
	v_add_f64 v[144:145], v[96:97], -v[98:99]
	v_fma_f64 v[112:113], v[120:121], s[28:29], -v[114:115]
	v_fma_f64 v[116:117], v[120:121], s[28:29], v[114:115]
	v_add_f64 v[114:115], v[100:101], v[102:103]
	v_add_f64 v[122:123], v[112:113], v[148:149]
	v_fma_f64 v[112:113], v[110:111], s[20:21], -v[104:105]
	v_fma_f64 v[104:105], v[110:111], s[20:21], v[104:105]
	v_add_f64 v[126:127], v[116:117], v[150:151]
	v_add_f64 v[110:111], v[96:97], v[98:99]
	v_mul_f64 v[96:97], v[144:145], s[34:35]
	v_add_f64 v[118:119], v[112:113], v[152:153]
	v_fma_f64 v[112:113], v[120:121], s[20:21], v[108:109]
	v_add_f64 v[116:117], v[112:113], v[154:155]
	v_add_f64 v[112:113], v[104:105], v[0:1]
	v_fma_f64 v[0:1], v[120:121], s[20:21], -v[108:109]
	v_add_f64 v[120:121], v[100:101], -v[102:103]
	v_mul_f64 v[104:105], v[144:145], s[38:39]
	v_add_f64 v[108:109], v[0:1], v[2:3]
	v_fma_f64 v[0:1], v[114:115], s[28:29], -v[96:97]
	v_fma_f64 v[96:97], v[114:115], s[28:29], v[96:97]
	v_fma_f64 v[100:101], v[114:115], s[22:23], -v[104:105]
	v_mul_f64 v[98:99], v[120:121], s[34:35]
	v_fma_f64 v[104:105], v[114:115], s[22:23], v[104:105]
	v_add_f64 v[0:1], v[0:1], v[156:157]
	v_add_f64 v[96:97], v[96:97], v[106:107]
	v_mul_f64 v[106:107], v[120:121], s[38:39]
	v_add_f64 v[100:101], v[100:101], v[130:131]
	v_fma_f64 v[2:3], v[110:111], s[28:29], v[98:99]
	v_fma_f64 v[98:99], v[110:111], s[28:29], -v[98:99]
	v_add_f64 v[104:105], v[104:105], v[202:203]
	v_fma_f64 v[102:103], v[110:111], s[22:23], v[106:107]
	v_fma_f64 v[106:107], v[110:111], s[22:23], -v[106:107]
	v_add_f64 v[2:3], v[2:3], v[158:159]
	v_add_f64 v[98:99], v[98:99], v[200:201]
	;; [unrolled: 1-line block ×3, first 2 shown]
	v_mul_f64 v[136:137], v[144:145], s[26:27]
	v_add_f64 v[106:107], v[106:107], v[132:133]
	v_fma_f64 v[130:131], v[114:115], s[24:25], -v[136:137]
	v_fma_f64 v[136:137], v[114:115], s[24:25], v[136:137]
	v_add_f64 v[130:131], v[130:131], v[138:139]
	v_mul_f64 v[138:139], v[120:121], s[26:27]
	v_add_f64 v[134:135], v[136:137], v[134:135]
	v_fma_f64 v[132:133], v[110:111], s[24:25], v[138:139]
	v_fma_f64 v[136:137], v[110:111], s[24:25], -v[138:139]
	v_add_f64 v[132:133], v[132:133], v[142:143]
	v_mul_f64 v[142:143], v[144:145], s[36:37]
	v_add_f64 v[136:137], v[136:137], v[140:141]
	v_fma_f64 v[138:139], v[114:115], s[20:21], -v[142:143]
	v_add_f64 v[138:139], v[138:139], v[128:129]
	v_mul_f64 v[128:129], v[120:121], s[36:37]
	v_fma_f64 v[140:141], v[110:111], s[20:21], v[128:129]
	v_add_f64 v[140:141], v[140:141], v[126:127]
	v_fma_f64 v[126:127], v[114:115], s[20:21], v[142:143]
	v_add_f64 v[124:125], v[126:127], v[124:125]
	v_fma_f64 v[126:127], v[110:111], s[20:21], -v[128:129]
	v_add_f64 v[126:127], v[126:127], v[122:123]
	v_mul_f64 v[122:123], v[144:145], s[18:19]
	v_fma_f64 v[128:129], v[114:115], s[0:1], -v[122:123]
	v_fma_f64 v[114:115], v[114:115], s[0:1], v[122:123]
	v_add_f64 v[118:119], v[128:129], v[118:119]
	v_mul_f64 v[128:129], v[120:121], s[18:19]
	v_add_f64 v[112:113], v[114:115], v[112:113]
	v_fma_f64 v[120:121], v[110:111], s[0:1], v[128:129]
	v_fma_f64 v[110:111], v[110:111], s[0:1], -v[128:129]
	v_add_f64 v[120:121], v[120:121], v[116:117]
	v_add_f64 v[114:115], v[110:111], v[108:109]
	ds_write_b128 v245, v[88:91] offset:17952
	ds_write_b128 v245, v[0:3] offset:18768
	;; [unrolled: 1-line block ×11, first 2 shown]
	s_waitcnt lgkmcnt(0)
	s_barrier
	buffer_gl0_inv
	ds_read_b128 v[112:115], v244
	ds_read_b128 v[126:129], v244 offset:8976
	ds_read_b128 v[130:133], v244 offset:17952
	;; [unrolled: 1-line block ×32, first 2 shown]
	buffer_load_dword v124, off, s[60:63], 0 ; 4-byte Folded Reload
	s_waitcnt vmcnt(0)
	v_lshlrev_b32_e32 v124, 5, v124
	v_add_co_u32 v134, s0, s2, v124
	v_add_co_ci_u32_e64 v135, null, s3, 0, s0
	v_add_co_u32 v124, s0, 0x2200, v134
	v_add_co_ci_u32_e64 v125, s0, 0, v135, s0
	v_add_co_u32 v134, s0, 0x2000, v134
	v_add_co_ci_u32_e64 v135, s0, 0, v135, s0
	s_clause 0x1
	global_load_dwordx4 v[138:141], v[134:135], off offset:512
	global_load_dwordx4 v[134:137], v[124:125], off offset:16
	s_waitcnt vmcnt(1) lgkmcnt(31)
	v_mul_f64 v[124:125], v[128:129], v[140:141]
	v_fma_f64 v[124:125], v[126:127], v[138:139], -v[124:125]
	v_mul_f64 v[126:127], v[126:127], v[140:141]
	buffer_store_dword v138, off, s[60:63], 0 offset:976 ; 4-byte Folded Spill
	buffer_store_dword v139, off, s[60:63], 0 offset:980 ; 4-byte Folded Spill
	;; [unrolled: 1-line block ×4, first 2 shown]
	v_fma_f64 v[128:129], v[128:129], v[138:139], v[126:127]
	s_waitcnt vmcnt(0) lgkmcnt(30)
	v_mul_f64 v[126:127], v[132:133], v[136:137]
	v_fma_f64 v[126:127], v[130:131], v[134:135], -v[126:127]
	v_mul_f64 v[130:131], v[130:131], v[136:137]
	buffer_store_dword v134, off, s[60:63], 0 offset:960 ; 4-byte Folded Spill
	buffer_store_dword v135, off, s[60:63], 0 offset:964 ; 4-byte Folded Spill
	;; [unrolled: 1-line block ×5, first 2 shown]
	v_fma_f64 v[132:133], v[132:133], v[134:135], v[130:131]
	v_lshlrev_b32_e32 v130, 5, v227
	v_add_co_u32 v134, s0, s2, v130
	v_add_co_ci_u32_e64 v135, null, s3, 0, s0
	v_add_co_u32 v130, s0, 0x2200, v134
	v_add_co_ci_u32_e64 v131, s0, 0, v135, s0
	v_add_co_u32 v134, s0, 0x2000, v134
	v_add_co_ci_u32_e64 v135, s0, 0, v135, s0
	s_clause 0x1
	global_load_dwordx4 v[140:143], v[134:135], off offset:512
	global_load_dwordx4 v[136:139], v[130:131], off offset:16
	s_waitcnt vmcnt(1) lgkmcnt(28)
	v_mul_f64 v[130:131], v[6:7], v[142:143]
	v_fma_f64 v[130:131], v[4:5], v[140:141], -v[130:131]
	v_mul_f64 v[4:5], v[4:5], v[142:143]
	buffer_store_dword v140, off, s[60:63], 0 offset:1008 ; 4-byte Folded Spill
	buffer_store_dword v141, off, s[60:63], 0 offset:1012 ; 4-byte Folded Spill
	buffer_store_dword v142, off, s[60:63], 0 offset:1016 ; 4-byte Folded Spill
	buffer_store_dword v143, off, s[60:63], 0 offset:1020 ; 4-byte Folded Spill
	v_fma_f64 v[154:155], v[6:7], v[140:141], v[4:5]
	s_waitcnt vmcnt(0) lgkmcnt(27)
	v_mul_f64 v[4:5], v[2:3], v[138:139]
	v_fma_f64 v[134:135], v[0:1], v[136:137], -v[4:5]
	v_mul_f64 v[0:1], v[0:1], v[138:139]
	buffer_store_dword v136, off, s[60:63], 0 offset:992 ; 4-byte Folded Spill
	buffer_store_dword v137, off, s[60:63], 0 offset:996 ; 4-byte Folded Spill
	buffer_store_dword v138, off, s[60:63], 0 offset:1000 ; 4-byte Folded Spill
	buffer_store_dword v139, off, s[60:63], 0 offset:1004 ; 4-byte Folded Spill
	v_fma_f64 v[158:159], v[2:3], v[136:137], v[0:1]
	v_lshlrev_b32_e32 v0, 5, v212
	v_add_co_u32 v2, s0, s2, v0
	v_add_co_ci_u32_e64 v3, null, s3, 0, s0
	v_add_co_u32 v0, s0, 0x2200, v2
	v_add_co_ci_u32_e64 v1, s0, 0, v3, s0
	v_add_co_u32 v2, s0, 0x2000, v2
	v_add_co_ci_u32_e64 v3, s0, 0, v3, s0
	s_clause 0x1
	global_load_dwordx4 v[136:139], v[2:3], off offset:512
	global_load_dwordx4 v[2:5], v[0:1], off offset:16
	s_waitcnt vmcnt(1) lgkmcnt(25)
	v_mul_f64 v[0:1], v[14:15], v[138:139]
	v_fma_f64 v[206:207], v[12:13], v[136:137], -v[0:1]
	v_mul_f64 v[0:1], v[12:13], v[138:139]
	buffer_store_dword v136, off, s[60:63], 0 offset:1040 ; 4-byte Folded Spill
	buffer_store_dword v137, off, s[60:63], 0 offset:1044 ; 4-byte Folded Spill
	buffer_store_dword v138, off, s[60:63], 0 offset:1048 ; 4-byte Folded Spill
	buffer_store_dword v139, off, s[60:63], 0 offset:1052 ; 4-byte Folded Spill
	v_fma_f64 v[212:213], v[14:15], v[136:137], v[0:1]
	s_waitcnt vmcnt(0) lgkmcnt(24)
	v_mul_f64 v[0:1], v[10:11], v[4:5]
	v_fma_f64 v[210:211], v[8:9], v[2:3], -v[0:1]
	v_mul_f64 v[0:1], v[8:9], v[4:5]
	buffer_store_dword v2, off, s[60:63], 0 offset:1024 ; 4-byte Folded Spill
	buffer_store_dword v3, off, s[60:63], 0 offset:1028 ; 4-byte Folded Spill
	buffer_store_dword v4, off, s[60:63], 0 offset:1032 ; 4-byte Folded Spill
	buffer_store_dword v5, off, s[60:63], 0 offset:1036 ; 4-byte Folded Spill
	;; [unrolled: 28-line block ×8, first 2 shown]
	v_fma_f64 v[28:29], v[54:55], v[2:3], v[0:1]
	buffer_load_dword v0, off, s[60:63], 0 offset:1232 ; 4-byte Folded Reload
	s_waitcnt vmcnt(0)
	v_lshlrev_b32_e32 v0, 5, v0
	v_add_co_u32 v2, s0, s2, v0
	v_add_co_ci_u32_e64 v3, null, s3, 0, s0
	v_add_co_u32 v0, s0, 0x2200, v2
	v_add_co_ci_u32_e64 v1, s0, 0, v3, s0
	v_add_co_u32 v2, s0, 0x2000, v2
	v_add_co_ci_u32_e64 v3, s0, 0, v3, s0
	s_clause 0x1
	global_load_dwordx4 v[10:13], v[2:3], off offset:512
	global_load_dwordx4 v[36:39], v[0:1], off offset:16
	s_waitcnt vmcnt(1) lgkmcnt(4)
	v_mul_f64 v[0:1], v[70:71], v[12:13]
	v_fma_f64 v[4:5], v[68:69], v[10:11], -v[0:1]
	v_mul_f64 v[0:1], v[68:69], v[12:13]
	buffer_store_dword v10, off, s[60:63], 0 offset:1264 ; 4-byte Folded Spill
	buffer_store_dword v11, off, s[60:63], 0 offset:1268 ; 4-byte Folded Spill
	;; [unrolled: 1-line block ×4, first 2 shown]
	v_fma_f64 v[14:15], v[70:71], v[10:11], v[0:1]
	s_waitcnt vmcnt(0) lgkmcnt(3)
	v_mul_f64 v[0:1], v[66:67], v[38:39]
	v_fma_f64 v[10:11], v[64:65], v[36:37], -v[0:1]
	v_mul_f64 v[0:1], v[64:65], v[38:39]
	buffer_store_dword v36, off, s[60:63], 0 offset:1232 ; 4-byte Folded Spill
	buffer_store_dword v37, off, s[60:63], 0 offset:1236 ; 4-byte Folded Spill
	;; [unrolled: 1-line block ×4, first 2 shown]
	v_fma_f64 v[20:21], v[66:67], v[36:37], v[0:1]
	v_lshlrev_b32_e32 v0, 5, v255
	buffer_load_dword v255, off, s[60:63], 0 ; 4-byte Folded Reload
	v_add_co_u32 v2, s0, s2, v0
	v_add_co_ci_u32_e64 v3, null, s3, 0, s0
	v_add_co_u32 v0, s0, 0x2200, v2
	v_add_co_ci_u32_e64 v1, s0, 0, v3, s0
	v_add_co_u32 v2, s0, 0x2000, v2
	v_add_co_ci_u32_e64 v3, s0, 0, v3, s0
	s_clause 0x1
	global_load_dwordx4 v[40:43], v[2:3], off offset:512
	global_load_dwordx4 v[36:39], v[0:1], off offset:16
	s_waitcnt vmcnt(1) lgkmcnt(1)
	v_mul_f64 v[0:1], v[122:123], v[42:43]
	v_mul_f64 v[2:3], v[120:121], v[42:43]
	s_waitcnt vmcnt(0) lgkmcnt(0)
	v_mul_f64 v[12:13], v[116:117], v[38:39]
	v_fma_f64 v[0:1], v[120:121], v[40:41], -v[0:1]
	buffer_store_dword v40, off, s[60:63], 0 offset:1296 ; 4-byte Folded Spill
	buffer_store_dword v41, off, s[60:63], 0 offset:1300 ; 4-byte Folded Spill
	;; [unrolled: 1-line block ×4, first 2 shown]
	v_fma_f64 v[6:7], v[122:123], v[40:41], v[2:3]
	v_mul_f64 v[2:3], v[118:119], v[38:39]
	v_fma_f64 v[2:3], v[116:117], v[36:37], -v[2:3]
	buffer_store_dword v36, off, s[60:63], 0 offset:1280 ; 4-byte Folded Spill
	buffer_store_dword v37, off, s[60:63], 0 offset:1284 ; 4-byte Folded Spill
	;; [unrolled: 1-line block ×4, first 2 shown]
	v_add_f64 v[38:39], v[128:129], -v[132:133]
	v_fma_f64 v[12:13], v[118:119], v[36:37], v[12:13]
	v_add_f64 v[36:37], v[112:113], v[124:125]
	v_add_f64 v[136:137], v[36:37], v[126:127]
	;; [unrolled: 1-line block ×3, first 2 shown]
	v_fma_f64 v[36:37], v[36:37], -0.5, v[112:113]
	v_fma_f64 v[144:145], v[38:39], s[12:13], v[36:37]
	v_fma_f64 v[140:141], v[38:39], s[16:17], v[36:37]
	v_add_f64 v[36:37], v[114:115], v[128:129]
	v_add_f64 v[38:39], v[124:125], -v[126:127]
	v_add_f64 v[138:139], v[36:37], v[132:133]
	v_add_f64 v[36:37], v[128:129], v[132:133]
	v_fma_f64 v[36:37], v[36:37], -0.5, v[114:115]
	v_fma_f64 v[146:147], v[38:39], s[16:17], v[36:37]
	v_fma_f64 v[142:143], v[38:39], s[12:13], v[36:37]
	v_add_f64 v[36:37], v[108:109], v[130:131]
	v_add_f64 v[38:39], v[154:155], -v[158:159]
	v_add_f64 v[148:149], v[36:37], v[134:135]
	v_add_f64 v[36:37], v[130:131], v[134:135]
	;; [unrolled: 7-line block ×9, first 2 shown]
	v_fma_f64 v[36:37], v[36:37], -0.5, v[98:99]
	v_fma_f64 v[234:235], v[38:39], s[16:17], v[36:37]
	v_fma_f64 v[230:231], v[38:39], s[12:13], v[36:37]
	v_add_f64 v[38:39], v[238:239], v[240:241]
	v_add_f64 v[36:37], v[92:93], v[238:239]
	v_fma_f64 v[38:39], v[38:39], -0.5, v[92:93]
	v_add_f64 v[92:93], v[246:247], -v[250:251]
	v_add_f64 v[36:37], v[36:37], v[240:241]
	v_fma_f64 v[248:249], v[92:93], s[12:13], v[38:39]
	v_fma_f64 v[124:125], v[92:93], s[16:17], v[38:39]
	v_add_f64 v[92:93], v[246:247], v[250:251]
	v_add_f64 v[38:39], v[94:95], v[246:247]
	v_fma_f64 v[92:93], v[92:93], -0.5, v[94:95]
	v_add_f64 v[94:95], v[238:239], -v[240:241]
	v_add_f64 v[38:39], v[38:39], v[250:251]
	v_fma_f64 v[250:251], v[94:95], s[16:17], v[92:93]
	v_fma_f64 v[126:127], v[94:95], s[12:13], v[92:93]
	v_add_f64 v[92:93], v[88:89], v[24:25]
	v_add_f64 v[132:133], v[92:93], v[32:33]
	;; [unrolled: 1-line block ×3, first 2 shown]
	v_add_f64 v[24:25], v[24:25], -v[32:33]
	v_add_f64 v[32:33], v[30:31], -v[236:237]
	v_fma_f64 v[88:89], v[92:93], -0.5, v[88:89]
	v_add_f64 v[92:93], v[34:35], -v[242:243]
	v_fma_f64 v[128:129], v[92:93], s[12:13], v[88:89]
	v_fma_f64 v[120:121], v[92:93], s[16:17], v[88:89]
	v_add_f64 v[88:89], v[90:91], v[34:35]
	v_add_f64 v[34:35], v[34:35], v[242:243]
	;; [unrolled: 1-line block ×3, first 2 shown]
	v_fma_f64 v[34:35], v[34:35], -0.5, v[90:91]
	v_fma_f64 v[130:131], v[24:25], s[16:17], v[34:35]
	v_fma_f64 v[122:123], v[24:25], s[12:13], v[34:35]
	v_add_f64 v[24:25], v[84:85], v[22:23]
	v_add_f64 v[116:117], v[24:25], v[26:27]
	;; [unrolled: 1-line block ×3, first 2 shown]
	v_add_f64 v[22:23], v[22:23], -v[26:27]
	v_fma_f64 v[24:25], v[24:25], -0.5, v[84:85]
	v_fma_f64 v[112:113], v[32:33], s[12:13], v[24:25]
	v_fma_f64 v[108:109], v[32:33], s[16:17], v[24:25]
	v_add_f64 v[24:25], v[86:87], v[30:31]
	v_add_f64 v[118:119], v[24:25], v[236:237]
	v_add_f64 v[24:25], v[30:31], v[236:237]
	v_fma_f64 v[24:25], v[24:25], -0.5, v[86:87]
	v_fma_f64 v[114:115], v[22:23], s[16:17], v[24:25]
	v_fma_f64 v[110:111], v[22:23], s[12:13], v[24:25]
	v_add_f64 v[22:23], v[80:81], v[8:9]
	v_add_f64 v[24:25], v[18:19], -v[28:29]
	v_add_f64 v[104:105], v[22:23], v[16:17]
	v_add_f64 v[22:23], v[8:9], v[16:17]
	v_add_f64 v[8:9], v[8:9], -v[16:17]
	v_add_f64 v[16:17], v[14:15], -v[20:21]
	v_fma_f64 v[22:23], v[22:23], -0.5, v[80:81]
	v_fma_f64 v[100:101], v[24:25], s[12:13], v[22:23]
	v_fma_f64 v[96:97], v[24:25], s[16:17], v[22:23]
	v_add_f64 v[22:23], v[82:83], v[18:19]
	v_add_f64 v[18:19], v[18:19], v[28:29]
	;; [unrolled: 1-line block ×3, first 2 shown]
	v_fma_f64 v[18:19], v[18:19], -0.5, v[82:83]
	v_fma_f64 v[102:103], v[8:9], s[16:17], v[18:19]
	v_fma_f64 v[98:99], v[8:9], s[12:13], v[18:19]
	v_add_f64 v[8:9], v[76:77], v[4:5]
	v_add_f64 v[92:93], v[8:9], v[10:11]
	v_add_f64 v[8:9], v[4:5], v[10:11]
	v_add_f64 v[4:5], v[4:5], -v[10:11]
	v_fma_f64 v[8:9], v[8:9], -0.5, v[76:77]
	v_fma_f64 v[88:89], v[16:17], s[12:13], v[8:9]
	v_fma_f64 v[84:85], v[16:17], s[16:17], v[8:9]
	v_add_f64 v[8:9], v[78:79], v[14:15]
	v_add_f64 v[94:95], v[8:9], v[20:21]
	;; [unrolled: 1-line block ×3, first 2 shown]
	v_lshlrev_b32_e32 v14, 4, v255
	v_fma_f64 v[8:9], v[8:9], -0.5, v[78:79]
	v_fma_f64 v[90:91], v[4:5], s[16:17], v[8:9]
	v_fma_f64 v[86:87], v[4:5], s[12:13], v[8:9]
	v_add_f64 v[4:5], v[72:73], v[0:1]
	v_add_f64 v[8:9], v[6:7], -v[12:13]
	v_add_f64 v[80:81], v[4:5], v[2:3]
	v_add_f64 v[4:5], v[0:1], v[2:3]
	v_add_f64 v[0:1], v[0:1], -v[2:3]
	v_fma_f64 v[4:5], v[4:5], -0.5, v[72:73]
	v_fma_f64 v[76:77], v[8:9], s[12:13], v[4:5]
	v_fma_f64 v[72:73], v[8:9], s[16:17], v[4:5]
	v_add_f64 v[4:5], v[74:75], v[6:7]
	v_add_f64 v[82:83], v[4:5], v[12:13]
	;; [unrolled: 1-line block ×3, first 2 shown]
	v_fma_f64 v[4:5], v[4:5], -0.5, v[74:75]
	v_fma_f64 v[78:79], v[0:1], s[16:17], v[4:5]
	v_fma_f64 v[74:75], v[0:1], s[12:13], v[4:5]
	ds_write_b128 v244, v[136:139]
	ds_write_b128 v244, v[144:147] offset:8976
	ds_write_b128 v244, v[140:143] offset:17952
	;; [unrolled: 1-line block ×32, first 2 shown]
	s_waitcnt lgkmcnt(0)
	s_waitcnt_vscnt null, 0x0
	s_barrier
	buffer_gl0_inv
	global_load_dwordx4 v[6:9], v14, s[4:5]
	ds_read_b128 v[2:5], v244
	v_add_co_u32 v0, s0, s4, v14
	v_add_co_ci_u32_e64 v1, null, s5, 0, s0
	s_waitcnt vmcnt(0) lgkmcnt(0)
	v_mul_f64 v[10:11], v[4:5], v[8:9]
	v_fma_f64 v[10:11], v[2:3], v[6:7], -v[10:11]
	v_mul_f64 v[2:3], v[2:3], v[8:9]
	v_fma_f64 v[12:13], v[4:5], v[6:7], v[2:3]
	global_load_dwordx4 v[6:9], v14, s[4:5] offset:1584
	ds_read_b128 v[2:5], v244 offset:1584
	ds_write_b128 v244, v[10:13]
	s_waitcnt vmcnt(0) lgkmcnt(1)
	v_mul_f64 v[10:11], v[4:5], v[8:9]
	v_fma_f64 v[10:11], v[2:3], v[6:7], -v[10:11]
	v_mul_f64 v[2:3], v[2:3], v[8:9]
	v_fma_f64 v[12:13], v[4:5], v[6:7], v[2:3]
	v_add_co_u32 v2, s0, 0x800, v0
	v_add_co_ci_u32_e64 v3, s0, 0, v1, s0
	ds_read_b128 v[4:7], v244 offset:3168
	ds_write_b128 v244, v[10:13] offset:1584
	global_load_dwordx4 v[8:11], v[2:3], off offset:1120
	s_waitcnt vmcnt(0) lgkmcnt(1)
	v_mul_f64 v[12:13], v[6:7], v[10:11]
	v_fma_f64 v[12:13], v[4:5], v[8:9], -v[12:13]
	v_mul_f64 v[4:5], v[4:5], v[10:11]
	v_fma_f64 v[14:15], v[6:7], v[8:9], v[4:5]
	v_add_co_u32 v4, s0, 0x1000, v0
	v_add_co_ci_u32_e64 v5, s0, 0, v1, s0
	ds_read_b128 v[6:9], v244 offset:4752
	ds_write_b128 v244, v[12:15] offset:3168
	global_load_dwordx4 v[10:13], v[4:5], off offset:656
	s_waitcnt vmcnt(0) lgkmcnt(1)
	v_mul_f64 v[14:15], v[8:9], v[12:13]
	v_fma_f64 v[14:15], v[6:7], v[10:11], -v[14:15]
	v_mul_f64 v[6:7], v[6:7], v[12:13]
	v_fma_f64 v[16:17], v[8:9], v[10:11], v[6:7]
	v_add_co_u32 v6, s0, 0x1800, v0
	v_add_co_ci_u32_e64 v7, s0, 0, v1, s0
	ds_read_b128 v[8:11], v244 offset:6336
	ds_write_b128 v244, v[14:17] offset:4752
	global_load_dwordx4 v[12:15], v[6:7], off offset:192
	s_waitcnt vmcnt(0) lgkmcnt(1)
	v_mul_f64 v[16:17], v[10:11], v[14:15]
	v_fma_f64 v[16:17], v[8:9], v[12:13], -v[16:17]
	v_mul_f64 v[8:9], v[8:9], v[14:15]
	v_fma_f64 v[18:19], v[10:11], v[12:13], v[8:9]
	global_load_dwordx4 v[12:15], v[6:7], off offset:1776
	ds_read_b128 v[8:11], v244 offset:7920
	ds_write_b128 v244, v[16:19] offset:6336
	s_waitcnt vmcnt(0) lgkmcnt(1)
	v_mul_f64 v[16:17], v[10:11], v[14:15]
	v_fma_f64 v[16:17], v[8:9], v[12:13], -v[16:17]
	v_mul_f64 v[8:9], v[8:9], v[14:15]
	v_fma_f64 v[18:19], v[10:11], v[12:13], v[8:9]
	ds_read_b128 v[8:11], v244 offset:9504
	ds_write_b128 v244, v[16:19] offset:7920
	v_add_co_u32 v16, s0, 0x2000, v0
	v_add_co_ci_u32_e64 v17, s0, 0, v1, s0
	global_load_dwordx4 v[12:15], v[16:17], off offset:1312
	s_waitcnt vmcnt(0) lgkmcnt(1)
	v_mul_f64 v[18:19], v[10:11], v[14:15]
	v_fma_f64 v[18:19], v[8:9], v[12:13], -v[18:19]
	v_mul_f64 v[8:9], v[8:9], v[14:15]
	v_fma_f64 v[20:21], v[10:11], v[12:13], v[8:9]
	v_add_co_u32 v8, s0, 0x2800, v0
	v_add_co_ci_u32_e64 v9, s0, 0, v1, s0
	ds_read_b128 v[10:13], v244 offset:11088
	ds_write_b128 v244, v[18:21] offset:9504
	global_load_dwordx4 v[18:21], v[8:9], off offset:848
	s_waitcnt vmcnt(0) lgkmcnt(1)
	v_mul_f64 v[14:15], v[12:13], v[20:21]
	v_fma_f64 v[22:23], v[10:11], v[18:19], -v[14:15]
	v_mul_f64 v[10:11], v[10:11], v[20:21]
	v_fma_f64 v[24:25], v[12:13], v[18:19], v[10:11]
	v_add_co_u32 v10, s0, 0x3000, v0
	v_add_co_ci_u32_e64 v11, s0, 0, v1, s0
	ds_read_b128 v[12:15], v244 offset:12672
	global_load_dwordx4 v[18:21], v[10:11], off offset:384
	ds_write_b128 v244, v[22:25] offset:11088
	s_waitcnt vmcnt(0) lgkmcnt(1)
	v_mul_f64 v[22:23], v[14:15], v[20:21]
	v_fma_f64 v[22:23], v[12:13], v[18:19], -v[22:23]
	v_mul_f64 v[12:13], v[12:13], v[20:21]
	v_fma_f64 v[24:25], v[14:15], v[18:19], v[12:13]
	global_load_dwordx4 v[18:21], v[10:11], off offset:1968
	ds_read_b128 v[12:15], v244 offset:14256
	ds_write_b128 v244, v[22:25] offset:12672
	s_waitcnt vmcnt(0) lgkmcnt(1)
	v_mul_f64 v[22:23], v[14:15], v[20:21]
	v_fma_f64 v[22:23], v[12:13], v[18:19], -v[22:23]
	v_mul_f64 v[12:13], v[12:13], v[20:21]
	v_fma_f64 v[24:25], v[14:15], v[18:19], v[12:13]
	ds_read_b128 v[12:15], v244 offset:15840
	ds_write_b128 v244, v[22:25] offset:14256
	v_add_co_u32 v22, s0, 0x3800, v0
	v_add_co_ci_u32_e64 v23, s0, 0, v1, s0
	global_load_dwordx4 v[18:21], v[22:23], off offset:1504
	s_waitcnt vmcnt(0) lgkmcnt(1)
	v_mul_f64 v[24:25], v[14:15], v[20:21]
	v_fma_f64 v[24:25], v[12:13], v[18:19], -v[24:25]
	v_mul_f64 v[12:13], v[12:13], v[20:21]
	v_fma_f64 v[26:27], v[14:15], v[18:19], v[12:13]
	v_add_co_u32 v12, s0, 0x4000, v0
	v_add_co_ci_u32_e64 v13, s0, 0, v1, s0
	ds_read_b128 v[18:21], v244 offset:17424
	ds_write_b128 v244, v[24:27] offset:15840
	global_load_dwordx4 v[24:27], v[12:13], off offset:1040
	s_waitcnt vmcnt(0) lgkmcnt(1)
	v_mul_f64 v[14:15], v[20:21], v[26:27]
	v_fma_f64 v[28:29], v[18:19], v[24:25], -v[14:15]
	v_mul_f64 v[14:15], v[18:19], v[26:27]
	v_fma_f64 v[30:31], v[20:21], v[24:25], v[14:15]
	v_add_co_u32 v14, s0, 0x4800, v0
	v_add_co_ci_u32_e64 v15, s0, 0, v1, s0
	ds_read_b128 v[18:21], v244 offset:19008
	global_load_dwordx4 v[24:27], v[14:15], off offset:576
	ds_write_b128 v244, v[28:31] offset:17424
	s_waitcnt vmcnt(0) lgkmcnt(1)
	v_mul_f64 v[28:29], v[20:21], v[26:27]
	v_fma_f64 v[28:29], v[18:19], v[24:25], -v[28:29]
	v_mul_f64 v[18:19], v[18:19], v[26:27]
	v_fma_f64 v[30:31], v[20:21], v[24:25], v[18:19]
	v_add_co_u32 v18, s0, 0x5000, v0
	v_add_co_ci_u32_e64 v19, s0, 0, v1, s0
	ds_read_b128 v[24:27], v244 offset:20592
	ds_write_b128 v244, v[28:31] offset:19008
	global_load_dwordx4 v[28:31], v[18:19], off offset:112
	s_waitcnt vmcnt(0) lgkmcnt(1)
	v_mul_f64 v[20:21], v[26:27], v[30:31]
	v_fma_f64 v[32:33], v[24:25], v[28:29], -v[20:21]
	v_mul_f64 v[20:21], v[24:25], v[30:31]
	v_fma_f64 v[34:35], v[26:27], v[28:29], v[20:21]
	global_load_dwordx4 v[28:31], v[18:19], off offset:1696
	ds_read_b128 v[24:27], v244 offset:22176
	ds_write_b128 v244, v[32:35] offset:20592
	s_waitcnt vmcnt(0) lgkmcnt(1)
	v_mul_f64 v[20:21], v[26:27], v[30:31]
	v_fma_f64 v[32:33], v[24:25], v[28:29], -v[20:21]
	v_mul_f64 v[20:21], v[24:25], v[30:31]
	v_add_co_u32 v24, s0, 0x5800, v0
	v_add_co_ci_u32_e64 v25, s0, 0, v1, s0
	v_fma_f64 v[34:35], v[26:27], v[28:29], v[20:21]
	ds_read_b128 v[26:29], v244 offset:23760
	ds_write_b128 v244, v[32:35] offset:22176
	global_load_dwordx4 v[30:33], v[24:25], off offset:1232
	s_waitcnt vmcnt(0) lgkmcnt(1)
	v_mul_f64 v[20:21], v[28:29], v[32:33]
	v_fma_f64 v[34:35], v[26:27], v[30:31], -v[20:21]
	v_mul_f64 v[20:21], v[26:27], v[32:33]
	v_fma_f64 v[36:37], v[28:29], v[30:31], v[20:21]
	v_add_co_u32 v20, s0, 0x6000, v0
	v_add_co_ci_u32_e64 v21, s0, 0, v1, s0
	ds_read_b128 v[26:29], v244 offset:25344
	global_load_dwordx4 v[30:33], v[20:21], off offset:768
	ds_write_b128 v244, v[34:37] offset:23760
	s_waitcnt vmcnt(0) lgkmcnt(1)
	v_mul_f64 v[34:35], v[28:29], v[32:33]
	v_fma_f64 v[34:35], v[26:27], v[30:31], -v[34:35]
	v_mul_f64 v[26:27], v[26:27], v[32:33]
	v_fma_f64 v[36:37], v[28:29], v[30:31], v[26:27]
	ds_write_b128 v244, v[34:37] offset:25344
	s_and_saveexec_b32 s0, vcc_lo
	s_cbranch_execz .LBB0_9
; %bb.8:
	global_load_dwordx4 v[30:33], v[0:1], off offset:816
	ds_read_b128 v[26:29], v244 offset:816
	s_waitcnt vmcnt(0) lgkmcnt(0)
	v_mul_f64 v[0:1], v[28:29], v[32:33]
	v_fma_f64 v[34:35], v[26:27], v[30:31], -v[0:1]
	v_mul_f64 v[0:1], v[26:27], v[32:33]
	v_fma_f64 v[36:37], v[28:29], v[30:31], v[0:1]
	global_load_dwordx4 v[30:33], v[2:3], off offset:352
	ds_read_b128 v[26:29], v244 offset:2400
	ds_write_b128 v244, v[34:37] offset:816
	s_waitcnt vmcnt(0) lgkmcnt(1)
	v_mul_f64 v[0:1], v[28:29], v[32:33]
	v_fma_f64 v[34:35], v[26:27], v[30:31], -v[0:1]
	v_mul_f64 v[0:1], v[26:27], v[32:33]
	v_fma_f64 v[36:37], v[28:29], v[30:31], v[0:1]
	global_load_dwordx4 v[0:3], v[2:3], off offset:1936
	ds_read_b128 v[26:29], v244 offset:3984
	ds_write_b128 v244, v[34:37] offset:2400
	s_waitcnt vmcnt(0) lgkmcnt(1)
	v_mul_f64 v[30:31], v[28:29], v[2:3]
	v_mul_f64 v[2:3], v[26:27], v[2:3]
	v_fma_f64 v[30:31], v[26:27], v[0:1], -v[30:31]
	v_fma_f64 v[32:33], v[28:29], v[0:1], v[2:3]
	global_load_dwordx4 v[26:29], v[4:5], off offset:1472
	ds_read_b128 v[0:3], v244 offset:5568
	ds_write_b128 v244, v[30:33] offset:3984
	s_waitcnt vmcnt(0) lgkmcnt(1)
	v_mul_f64 v[4:5], v[2:3], v[28:29]
	v_fma_f64 v[30:31], v[0:1], v[26:27], -v[4:5]
	global_load_dwordx4 v[4:7], v[6:7], off offset:1008
	v_mul_f64 v[0:1], v[0:1], v[28:29]
	v_fma_f64 v[32:33], v[2:3], v[26:27], v[0:1]
	ds_read_b128 v[0:3], v244 offset:7152
	ds_write_b128 v244, v[30:33] offset:5568
	s_waitcnt vmcnt(0) lgkmcnt(1)
	v_mul_f64 v[26:27], v[2:3], v[6:7]
	v_fma_f64 v[26:27], v[0:1], v[4:5], -v[26:27]
	v_mul_f64 v[0:1], v[0:1], v[6:7]
	v_fma_f64 v[28:29], v[2:3], v[4:5], v[0:1]
	global_load_dwordx4 v[4:7], v[16:17], off offset:544
	ds_read_b128 v[0:3], v244 offset:8736
	ds_write_b128 v244, v[26:29] offset:7152
	s_waitcnt vmcnt(0) lgkmcnt(1)
	v_mul_f64 v[16:17], v[2:3], v[6:7]
	v_fma_f64 v[26:27], v[0:1], v[4:5], -v[16:17]
	v_mul_f64 v[0:1], v[0:1], v[6:7]
	v_fma_f64 v[28:29], v[2:3], v[4:5], v[0:1]
	global_load_dwordx4 v[4:7], v[8:9], off offset:80
	;; [unrolled: 8-line block ×10, first 2 shown]
	ds_read_b128 v[0:3], v244 offset:22992
	ds_write_b128 v244, v[8:11] offset:21408
	s_waitcnt vmcnt(0) lgkmcnt(1)
	v_mul_f64 v[8:9], v[2:3], v[6:7]
	v_fma_f64 v[8:9], v[0:1], v[4:5], -v[8:9]
	v_mul_f64 v[0:1], v[0:1], v[6:7]
	v_fma_f64 v[10:11], v[2:3], v[4:5], v[0:1]
	v_lshl_or_b32 v4, v255, 4, 0x6000
	ds_read_b128 v[0:3], v244 offset:24576
	global_load_dwordx4 v[4:7], v4, s[4:5]
	ds_write_b128 v244, v[8:11] offset:22992
	s_waitcnt vmcnt(0) lgkmcnt(1)
	v_mul_f64 v[8:9], v[2:3], v[6:7]
	v_fma_f64 v[8:9], v[0:1], v[4:5], -v[8:9]
	v_mul_f64 v[0:1], v[0:1], v[6:7]
	v_fma_f64 v[10:11], v[2:3], v[4:5], v[0:1]
	global_load_dwordx4 v[4:7], v[20:21], off offset:1584
	ds_read_b128 v[0:3], v244 offset:26160
	ds_write_b128 v244, v[8:11] offset:24576
	s_waitcnt vmcnt(0) lgkmcnt(1)
	v_mul_f64 v[8:9], v[2:3], v[6:7]
	v_fma_f64 v[8:9], v[0:1], v[4:5], -v[8:9]
	v_mul_f64 v[0:1], v[0:1], v[6:7]
	v_fma_f64 v[10:11], v[2:3], v[4:5], v[0:1]
	ds_write_b128 v244, v[8:11] offset:26160
.LBB0_9:
	s_or_b32 exec_lo, exec_lo, s0
	s_waitcnt lgkmcnt(0)
	s_barrier
	buffer_gl0_inv
	ds_read_b128 v[236:239], v244
	ds_read_b128 v[136:139], v244 offset:1584
	ds_read_b128 v[228:231], v244 offset:3168
	;; [unrolled: 1-line block ×16, first 2 shown]
	s_and_saveexec_b32 s0, vcc_lo
	s_cbranch_execz .LBB0_11
; %bb.10:
	ds_read_b128 v[124:127], v244 offset:816
	ds_read_b128 v[132:135], v244 offset:2400
	;; [unrolled: 1-line block ×17, first 2 shown]
	s_waitcnt lgkmcnt(0)
	buffer_store_dword v0, off, s[60:63], 0 offset:4 ; 4-byte Folded Spill
	buffer_store_dword v1, off, s[60:63], 0 offset:8 ; 4-byte Folded Spill
	;; [unrolled: 1-line block ×4, first 2 shown]
.LBB0_11:
	s_or_b32 exec_lo, exec_lo, s0
	s_waitcnt lgkmcnt(15)
	v_add_f64 v[0:1], v[236:237], v[136:137]
	v_add_f64 v[2:3], v[238:239], v[138:139]
	s_waitcnt lgkmcnt(0)
	v_add_f64 v[6:7], v[138:139], -v[242:243]
	s_mov_b32 s2, 0x5d8e7cdc
	s_mov_b32 s12, 0x2a9d6da3
	;; [unrolled: 1-line block ×16, first 2 shown]
	v_add_f64 v[4:5], v[136:137], -v[240:241]
	s_mov_b32 s0, 0x370991
	s_mov_b32 s4, 0x75d4884
	v_add_f64 v[0:1], v[0:1], v[228:229]
	v_add_f64 v[2:3], v[2:3], v[230:231]
	v_mul_f64 v[8:9], v[6:7], s[2:3]
	v_mul_f64 v[16:17], v[6:7], s[12:13]
	;; [unrolled: 1-line block ×6, first 2 shown]
	s_mov_b32 s16, 0x2b2883cd
	s_mov_b32 s22, 0x3259b75e
	;; [unrolled: 1-line block ×14, first 2 shown]
	v_add_f64 v[0:1], v[0:1], v[220:221]
	v_add_f64 v[2:3], v[2:3], v[222:223]
	s_mov_b32 s21, 0x3fd71e95
	s_mov_b32 s20, s2
	s_mov_b32 s41, 0x3fe58eea
	s_mov_b32 s40, s12
	s_mov_b32 s29, 0x3feca52d
	s_mov_b32 s28, s18
	s_mov_b32 s57, 0x3fefdd0d
	s_mov_b32 s56, s24
	s_mov_b32 s43, 0x3feec746
	s_mov_b32 s42, s30
	s_mov_b32 s55, 0x3fe9895b
	s_mov_b32 s54, s36
	s_mov_b32 s51, 0x3fe0d888
	s_mov_b32 s50, s44
	s_mov_b32 s53, 0x3fc7851a
	s_mov_b32 s52, s48
	v_add_f64 v[54:55], v[222:223], -v[226:227]
	v_add_f64 v[52:53], v[220:221], -v[224:225]
	v_add_f64 v[0:1], v[0:1], v[212:213]
	v_add_f64 v[2:3], v[2:3], v[214:215]
	;; [unrolled: 1-line block ×26, first 2 shown]
	buffer_store_dword v0, off, s[60:63], 0 offset:1312 ; 4-byte Folded Spill
	buffer_store_dword v1, off, s[60:63], 0 offset:1316 ; 4-byte Folded Spill
	;; [unrolled: 1-line block ×4, first 2 shown]
	v_add_f64 v[0:1], v[136:137], v[240:241]
	v_add_f64 v[2:3], v[138:139], v[242:243]
	v_mul_f64 v[136:137], v[6:7], s[30:31]
	v_mul_f64 v[6:7], v[6:7], s[48:49]
	s_waitcnt_vscnt null, 0x0
	s_barrier
	buffer_gl0_inv
	v_fma_f64 v[10:11], v[0:1], s[0:1], v[8:9]
	v_mul_f64 v[12:13], v[2:3], s[0:1]
	v_fma_f64 v[8:9], v[0:1], s[0:1], -v[8:9]
	v_fma_f64 v[18:19], v[0:1], s[4:5], v[16:17]
	v_mul_f64 v[20:21], v[2:3], s[4:5]
	v_fma_f64 v[16:17], v[0:1], s[4:5], -v[16:17]
	;; [unrolled: 3-line block ×8, first 2 shown]
	v_add_f64 v[6:7], v[230:231], v[234:235]
	v_add_f64 v[230:231], v[230:231], -v[234:235]
	v_fma_f64 v[14:15], v[4:5], s[20:21], v[12:13]
	v_fma_f64 v[12:13], v[4:5], s[2:3], v[12:13]
	;; [unrolled: 1-line block ×8, first 2 shown]
	v_add_f64 v[10:11], v[236:237], v[10:11]
	v_fma_f64 v[242:243], v[4:5], s[42:43], v[240:241]
	v_fma_f64 v[240:241], v[4:5], s[30:31], v[240:241]
	v_add_f64 v[8:9], v[236:237], v[8:9]
	v_fma_f64 v[252:253], v[4:5], s[54:55], v[250:251]
	v_fma_f64 v[250:251], v[4:5], s[36:37], v[250:251]
	;; [unrolled: 3-line block ×4, first 2 shown]
	v_add_f64 v[4:5], v[228:229], v[232:233]
	v_add_f64 v[228:229], v[228:229], -v[232:233]
	v_mul_f64 v[232:233], v[230:231], s[12:13]
	v_add_f64 v[12:13], v[238:239], v[12:13]
	v_add_f64 v[26:27], v[236:237], v[26:27]
	;; [unrolled: 1-line block ×21, first 2 shown]
	v_fma_f64 v[234:235], v[4:5], s[4:5], v[232:233]
	v_fma_f64 v[232:233], v[4:5], s[4:5], -v[232:233]
	v_add_f64 v[250:251], v[238:239], v[250:251]
	v_add_f64 v[242:243], v[238:239], v[242:243]
	;; [unrolled: 1-line block ×8, first 2 shown]
	v_mul_f64 v[234:235], v[6:7], s[4:5]
	v_add_f64 v[8:9], v[232:233], v[8:9]
	v_fma_f64 v[232:233], v[228:229], s[12:13], v[234:235]
	v_fma_f64 v[236:237], v[228:229], s[40:41], v[234:235]
	v_add_f64 v[12:13], v[232:233], v[12:13]
	v_mul_f64 v[232:233], v[230:231], s[24:25]
	v_add_f64 v[14:15], v[236:237], v[14:15]
	v_fma_f64 v[234:235], v[4:5], s[22:23], v[232:233]
	v_fma_f64 v[232:233], v[4:5], s[22:23], -v[232:233]
	v_add_f64 v[18:19], v[234:235], v[18:19]
	v_mul_f64 v[234:235], v[6:7], s[22:23]
	v_add_f64 v[16:17], v[232:233], v[16:17]
	v_fma_f64 v[232:233], v[228:229], s[24:25], v[234:235]
	v_fma_f64 v[236:237], v[228:229], s[56:57], v[234:235]
	v_add_f64 v[20:21], v[232:233], v[20:21]
	v_mul_f64 v[232:233], v[230:231], s[36:37]
	v_add_f64 v[22:23], v[236:237], v[22:23]
	v_fma_f64 v[234:235], v[4:5], s[34:35], v[232:233]
	v_fma_f64 v[232:233], v[4:5], s[34:35], -v[232:233]
	v_add_f64 v[26:27], v[234:235], v[26:27]
	;; [unrolled: 10-line block ×5, first 2 shown]
	v_mul_f64 v[234:235], v[6:7], s[26:27]
	v_add_f64 v[246:247], v[232:233], v[246:247]
	v_fma_f64 v[232:233], v[228:229], s[42:43], v[234:235]
	v_fma_f64 v[236:237], v[228:229], s[30:31], v[234:235]
	v_add_f64 v[250:251], v[232:233], v[250:251]
	v_mul_f64 v[232:233], v[230:231], s[28:29]
	v_mul_f64 v[230:231], v[230:231], s[20:21]
	v_add_f64 v[252:253], v[236:237], v[252:253]
	v_fma_f64 v[234:235], v[4:5], s[16:17], v[232:233]
	v_fma_f64 v[232:233], v[4:5], s[16:17], -v[232:233]
	v_add_f64 v[42:43], v[234:235], v[42:43]
	v_mul_f64 v[234:235], v[6:7], s[16:17]
	v_add_f64 v[40:41], v[232:233], v[40:41]
	v_mul_f64 v[6:7], v[6:7], s[0:1]
	v_fma_f64 v[232:233], v[228:229], s[28:29], v[234:235]
	v_fma_f64 v[236:237], v[228:229], s[18:19], v[234:235]
	v_add_f64 v[44:45], v[232:233], v[44:45]
	v_fma_f64 v[232:233], v[4:5], s[0:1], v[230:231]
	v_fma_f64 v[4:5], v[4:5], s[0:1], -v[230:231]
	v_add_f64 v[46:47], v[236:237], v[46:47]
	v_add_f64 v[48:49], v[232:233], v[48:49]
	;; [unrolled: 1-line block ×3, first 2 shown]
	v_fma_f64 v[4:5], v[228:229], s[20:21], v[6:7]
	v_fma_f64 v[232:233], v[228:229], s[2:3], v[6:7]
	v_add_f64 v[6:7], v[222:223], v[226:227]
	v_add_f64 v[2:3], v[4:5], v[2:3]
	;; [unrolled: 1-line block ×3, first 2 shown]
	v_mul_f64 v[220:221], v[54:55], s[18:19]
	v_add_f64 v[50:51], v[232:233], v[50:51]
	v_fma_f64 v[222:223], v[4:5], s[16:17], v[220:221]
	v_fma_f64 v[220:221], v[4:5], s[16:17], -v[220:221]
	v_add_f64 v[10:11], v[222:223], v[10:11]
	v_mul_f64 v[222:223], v[6:7], s[16:17]
	v_add_f64 v[8:9], v[220:221], v[8:9]
	v_fma_f64 v[220:221], v[52:53], s[18:19], v[222:223]
	v_fma_f64 v[224:225], v[52:53], s[28:29], v[222:223]
	v_add_f64 v[12:13], v[220:221], v[12:13]
	v_mul_f64 v[220:221], v[54:55], s[36:37]
	v_add_f64 v[14:15], v[224:225], v[14:15]
	v_fma_f64 v[222:223], v[4:5], s[34:35], v[220:221]
	v_add_f64 v[56:57], v[222:223], v[18:19]
	v_mul_f64 v[18:19], v[6:7], s[34:35]
	v_fma_f64 v[58:59], v[52:53], s[54:55], v[18:19]
	v_add_f64 v[58:59], v[58:59], v[22:23]
	v_fma_f64 v[22:23], v[4:5], s[34:35], -v[220:221]
	v_add_f64 v[60:61], v[22:23], v[16:17]
	v_fma_f64 v[16:17], v[52:53], s[36:37], v[18:19]
	v_add_f64 v[62:63], v[16:17], v[20:21]
	v_mul_f64 v[16:17], v[54:55], s[52:53]
	v_fma_f64 v[18:19], v[4:5], s[46:47], v[16:17]
	v_fma_f64 v[16:17], v[4:5], s[46:47], -v[16:17]
	v_add_f64 v[64:65], v[18:19], v[26:27]
	v_mul_f64 v[18:19], v[6:7], s[46:47]
	v_add_f64 v[68:69], v[16:17], v[24:25]
	v_fma_f64 v[16:17], v[52:53], s[52:53], v[18:19]
	v_fma_f64 v[20:21], v[52:53], s[48:49], v[18:19]
	v_add_f64 v[70:71], v[16:17], v[28:29]
	v_mul_f64 v[16:17], v[54:55], s[42:43]
	v_add_f64 v[66:67], v[20:21], v[30:31]
	v_fma_f64 v[18:19], v[4:5], s[26:27], v[16:17]
	v_fma_f64 v[16:17], v[4:5], s[26:27], -v[16:17]
	v_add_f64 v[238:239], v[18:19], v[34:35]
	v_mul_f64 v[18:19], v[6:7], s[26:27]
	v_add_f64 v[234:235], v[16:17], v[32:33]
	v_fma_f64 v[16:17], v[52:53], s[42:43], v[18:19]
	v_fma_f64 v[20:21], v[52:53], s[30:31], v[18:19]
	v_add_f64 v[236:237], v[16:17], v[36:37]
	v_mul_f64 v[16:17], v[54:55], s[40:41]
	v_add_f64 v[232:233], v[20:21], v[38:39]
	v_add_f64 v[36:37], v[212:213], v[216:217]
	;; [unrolled: 1-line block ×3, first 2 shown]
	v_fma_f64 v[18:19], v[4:5], s[4:5], v[16:17]
	v_fma_f64 v[16:17], v[4:5], s[4:5], -v[16:17]
	v_add_f64 v[230:231], v[18:19], v[138:139]
	v_mul_f64 v[18:19], v[6:7], s[4:5]
	v_add_f64 v[226:227], v[16:17], v[136:137]
	v_fma_f64 v[16:17], v[52:53], s[40:41], v[18:19]
	v_fma_f64 v[20:21], v[52:53], s[12:13], v[18:19]
	v_add_f64 v[228:229], v[16:17], v[240:241]
	v_mul_f64 v[16:17], v[54:55], s[2:3]
	v_add_f64 v[224:225], v[20:21], v[242:243]
	v_fma_f64 v[18:19], v[4:5], s[0:1], v[16:17]
	v_fma_f64 v[16:17], v[4:5], s[0:1], -v[16:17]
	v_add_f64 v[242:243], v[18:19], v[248:249]
	v_mul_f64 v[18:19], v[6:7], s[0:1]
	v_add_f64 v[26:27], v[16:17], v[246:247]
	v_fma_f64 v[16:17], v[52:53], s[2:3], v[18:19]
	v_fma_f64 v[20:21], v[52:53], s[20:21], v[18:19]
	v_add_f64 v[28:29], v[16:17], v[250:251]
	v_mul_f64 v[16:17], v[54:55], s[24:25]
	v_add_f64 v[24:25], v[20:21], v[252:253]
	v_fma_f64 v[18:19], v[4:5], s[22:23], v[16:17]
	v_fma_f64 v[16:17], v[4:5], s[22:23], -v[16:17]
	v_add_f64 v[30:31], v[18:19], v[42:43]
	v_mul_f64 v[18:19], v[6:7], s[22:23]
	v_add_f64 v[34:35], v[16:17], v[40:41]
	v_add_f64 v[42:43], v[214:215], -v[218:219]
	v_add_f64 v[40:41], v[212:213], -v[216:217]
	v_mul_f64 v[6:7], v[6:7], s[38:39]
	v_fma_f64 v[16:17], v[52:53], s[24:25], v[18:19]
	v_fma_f64 v[20:21], v[52:53], s[56:57], v[18:19]
	v_add_f64 v[136:137], v[16:17], v[44:45]
	v_mul_f64 v[44:45], v[42:43], s[20:21]
	v_add_f64 v[32:33], v[20:21], v[46:47]
	v_mul_f64 v[16:17], v[54:55], s[44:45]
	v_fma_f64 v[46:47], v[36:37], s[0:1], v[44:45]
	v_fma_f64 v[44:45], v[36:37], s[0:1], -v[44:45]
	v_fma_f64 v[18:19], v[4:5], s[38:39], v[16:17]
	v_fma_f64 v[4:5], v[4:5], s[38:39], -v[16:17]
	v_add_f64 v[238:239], v[46:47], v[238:239]
	v_mul_f64 v[46:47], v[38:39], s[0:1]
	v_add_f64 v[234:235], v[44:45], v[234:235]
	v_add_f64 v[138:139], v[18:19], v[48:49]
	;; [unrolled: 1-line block ×3, first 2 shown]
	v_fma_f64 v[0:1], v[52:53], s[44:45], v[6:7]
	v_fma_f64 v[18:19], v[52:53], s[50:51], v[6:7]
	;; [unrolled: 1-line block ×4, first 2 shown]
	v_add_f64 v[240:241], v[0:1], v[2:3]
	v_mul_f64 v[0:1], v[42:43], s[24:25]
	v_add_f64 v[220:221], v[18:19], v[50:51]
	v_add_f64 v[236:237], v[44:45], v[236:237]
	v_mul_f64 v[44:45], v[42:43], s[18:19]
	v_add_f64 v[232:233], v[48:49], v[232:233]
	v_fma_f64 v[2:3], v[36:37], s[22:23], v[0:1]
	v_fma_f64 v[0:1], v[36:37], s[22:23], -v[0:1]
	v_fma_f64 v[46:47], v[36:37], s[16:17], v[44:45]
	v_fma_f64 v[44:45], v[36:37], s[16:17], -v[44:45]
	v_add_f64 v[22:23], v[2:3], v[10:11]
	v_mul_f64 v[2:3], v[38:39], s[22:23]
	v_add_f64 v[18:19], v[0:1], v[8:9]
	v_add_f64 v[230:231], v[46:47], v[230:231]
	v_mul_f64 v[46:47], v[38:39], s[16:17]
	v_add_f64 v[226:227], v[44:45], v[226:227]
	v_fma_f64 v[0:1], v[40:41], s[24:25], v[2:3]
	v_fma_f64 v[4:5], v[40:41], s[56:57], v[2:3]
	;; [unrolled: 1-line block ×4, first 2 shown]
	v_add_f64 v[20:21], v[0:1], v[12:13]
	v_mul_f64 v[0:1], v[42:43], s[48:49]
	v_add_f64 v[16:17], v[4:5], v[14:15]
	v_add_f64 v[228:229], v[44:45], v[228:229]
	v_mul_f64 v[44:45], v[42:43], s[44:45]
	v_add_f64 v[224:225], v[48:49], v[224:225]
	v_fma_f64 v[2:3], v[36:37], s[46:47], v[0:1]
	v_fma_f64 v[0:1], v[36:37], s[46:47], -v[0:1]
	v_fma_f64 v[46:47], v[36:37], s[38:39], v[44:45]
	v_fma_f64 v[44:45], v[36:37], s[38:39], -v[44:45]
	v_add_f64 v[14:15], v[2:3], v[56:57]
	v_mul_f64 v[2:3], v[38:39], s[46:47]
	v_add_f64 v[10:11], v[0:1], v[60:61]
	v_add_f64 v[218:219], v[46:47], v[242:243]
	v_mul_f64 v[46:47], v[38:39], s[38:39]
	v_add_f64 v[26:27], v[44:45], v[26:27]
	v_fma_f64 v[4:5], v[40:41], s[52:53], v[2:3]
	v_fma_f64 v[0:1], v[40:41], s[48:49], v[2:3]
	v_mul_f64 v[2:3], v[42:43], s[42:43]
	v_fma_f64 v[44:45], v[40:41], s[44:45], v[46:47]
	v_fma_f64 v[48:49], v[40:41], s[50:51], v[46:47]
	v_add_f64 v[8:9], v[4:5], v[58:59]
	v_add_f64 v[12:13], v[0:1], v[62:63]
	v_fma_f64 v[0:1], v[36:37], s[26:27], v[2:3]
	v_mul_f64 v[4:5], v[38:39], s[26:27]
	v_fma_f64 v[2:3], v[36:37], s[26:27], -v[2:3]
	v_add_f64 v[28:29], v[44:45], v[28:29]
	v_mul_f64 v[44:45], v[42:43], s[54:55]
	v_mul_f64 v[42:43], v[42:43], s[40:41]
	v_add_f64 v[24:25], v[48:49], v[24:25]
	v_add_f64 v[6:7], v[0:1], v[64:65]
	v_fma_f64 v[0:1], v[40:41], s[30:31], v[4:5]
	v_fma_f64 v[4:5], v[40:41], s[42:43], v[4:5]
	v_add_f64 v[64:65], v[156:157], v[200:201]
	v_add_f64 v[2:3], v[2:3], v[68:69]
	v_add_f64 v[68:69], v[156:157], -v[200:201]
	v_fma_f64 v[46:47], v[36:37], s[34:35], v[44:45]
	v_fma_f64 v[44:45], v[36:37], s[34:35], -v[44:45]
	v_add_f64 v[0:1], v[0:1], v[66:67]
	v_add_f64 v[4:5], v[4:5], v[70:71]
	v_add_f64 v[70:71], v[158:159], -v[202:203]
	v_add_f64 v[66:67], v[158:159], v[202:203]
	v_add_f64 v[30:31], v[46:47], v[30:31]
	v_mul_f64 v[46:47], v[38:39], s[34:35]
	v_add_f64 v[34:35], v[44:45], v[34:35]
	v_mul_f64 v[38:39], v[38:39], s[4:5]
	v_fma_f64 v[44:45], v[40:41], s[54:55], v[46:47]
	v_fma_f64 v[48:49], v[40:41], s[36:37], v[46:47]
	v_add_f64 v[136:137], v[44:45], v[136:137]
	v_fma_f64 v[44:45], v[36:37], s[4:5], v[42:43]
	v_fma_f64 v[36:37], v[36:37], s[4:5], -v[42:43]
	v_add_f64 v[32:33], v[48:49], v[32:33]
	v_add_f64 v[138:139], v[44:45], v[138:139]
	v_fma_f64 v[44:45], v[40:41], s[12:13], v[38:39]
	v_add_f64 v[214:215], v[36:37], v[222:223]
	v_add_f64 v[222:223], v[206:207], v[210:211]
	v_add_f64 v[206:207], v[206:207], -v[210:211]
	v_fma_f64 v[36:37], v[40:41], s[40:41], v[38:39]
	v_add_f64 v[212:213], v[44:45], v[220:221]
	v_add_f64 v[220:221], v[204:205], v[208:209]
	v_add_f64 v[204:205], v[204:205], -v[208:209]
	v_mul_f64 v[52:53], v[206:207], s[56:57]
	v_mul_f64 v[56:57], v[222:223], s[22:23]
	v_add_f64 v[216:217], v[36:37], v[240:241]
	v_mul_f64 v[36:37], v[206:207], s[30:31]
	v_mul_f64 v[44:45], v[206:207], s[48:49]
	v_mul_f64 v[48:49], v[222:223], s[46:47]
	v_mul_f64 v[60:61], v[222:223], s[34:35]
	v_fma_f64 v[54:55], v[220:221], s[22:23], v[52:53]
	v_fma_f64 v[52:53], v[220:221], s[22:23], -v[52:53]
	v_fma_f64 v[58:59], v[204:205], s[24:25], v[56:57]
	v_fma_f64 v[38:39], v[220:221], s[26:27], v[36:37]
	v_fma_f64 v[36:37], v[220:221], s[26:27], -v[36:37]
	v_fma_f64 v[46:47], v[220:221], s[46:47], v[44:45]
	v_fma_f64 v[44:45], v[220:221], s[46:47], -v[44:45]
	v_fma_f64 v[50:51], v[204:205], s[52:53], v[48:49]
	v_fma_f64 v[48:49], v[204:205], s[48:49], v[48:49]
	;; [unrolled: 1-line block ×4, first 2 shown]
	v_add_f64 v[54:55], v[54:55], v[218:219]
	v_add_f64 v[26:27], v[52:53], v[26:27]
	v_fma_f64 v[52:53], v[204:205], s[56:57], v[56:57]
	v_add_f64 v[24:25], v[58:59], v[24:25]
	v_add_f64 v[22:23], v[38:39], v[22:23]
	v_mul_f64 v[38:39], v[222:223], s[26:27]
	v_add_f64 v[18:19], v[36:37], v[18:19]
	v_add_f64 v[46:47], v[46:47], v[230:231]
	;; [unrolled: 1-line block ×8, first 2 shown]
	v_mul_f64 v[52:53], v[206:207], s[2:3]
	v_fma_f64 v[36:37], v[204:205], s[30:31], v[38:39]
	v_fma_f64 v[40:41], v[204:205], s[42:43], v[38:39]
	;; [unrolled: 1-line block ×3, first 2 shown]
	v_fma_f64 v[52:53], v[220:221], s[0:1], -v[52:53]
	v_add_f64 v[20:21], v[36:37], v[20:21]
	v_mul_f64 v[36:37], v[206:207], s[50:51]
	v_add_f64 v[16:17], v[40:41], v[16:17]
	v_add_f64 v[30:31], v[56:57], v[30:31]
	v_mul_f64 v[56:57], v[222:223], s[0:1]
	v_add_f64 v[34:35], v[52:53], v[34:35]
	v_fma_f64 v[38:39], v[220:221], s[38:39], v[36:37]
	v_fma_f64 v[36:37], v[220:221], s[38:39], -v[36:37]
	v_fma_f64 v[58:59], v[204:205], s[20:21], v[56:57]
	v_fma_f64 v[52:53], v[204:205], s[2:3], v[56:57]
	v_mul_f64 v[56:57], v[206:207], s[36:37]
	v_add_f64 v[14:15], v[38:39], v[14:15]
	v_mul_f64 v[38:39], v[222:223], s[38:39]
	v_add_f64 v[10:11], v[36:37], v[10:11]
	v_add_f64 v[32:33], v[58:59], v[32:33]
	;; [unrolled: 1-line block ×3, first 2 shown]
	v_fma_f64 v[58:59], v[220:221], s[34:35], v[56:57]
	v_mul_f64 v[136:137], v[70:71], s[36:37]
	v_fma_f64 v[36:37], v[204:205], s[50:51], v[38:39]
	v_fma_f64 v[40:41], v[204:205], s[44:45], v[38:39]
	v_fma_f64 v[56:57], v[220:221], s[34:35], -v[56:57]
	v_add_f64 v[58:59], v[58:59], v[138:139]
	v_fma_f64 v[138:139], v[64:65], s[34:35], v[136:137]
	v_fma_f64 v[136:137], v[64:65], s[34:35], -v[136:137]
	v_add_f64 v[12:13], v[36:37], v[12:13]
	v_mul_f64 v[36:37], v[206:207], s[40:41]
	v_add_f64 v[8:9], v[40:41], v[8:9]
	v_add_f64 v[56:57], v[56:57], v[214:215]
	;; [unrolled: 1-line block ×3, first 2 shown]
	v_mul_f64 v[138:139], v[66:67], s[34:35]
	v_add_f64 v[18:19], v[136:137], v[18:19]
	v_fma_f64 v[38:39], v[220:221], s[4:5], v[36:37]
	v_fma_f64 v[36:37], v[220:221], s[4:5], -v[36:37]
	v_fma_f64 v[136:137], v[68:69], s[36:37], v[138:139]
	v_fma_f64 v[156:157], v[68:69], s[54:55], v[138:139]
	v_add_f64 v[6:7], v[38:39], v[6:7]
	v_mul_f64 v[38:39], v[222:223], s[4:5]
	v_add_f64 v[2:3], v[36:37], v[2:3]
	v_add_f64 v[20:21], v[136:137], v[20:21]
	v_mul_f64 v[136:137], v[70:71], s[42:43]
	v_add_f64 v[16:17], v[156:157], v[16:17]
	v_fma_f64 v[36:37], v[204:205], s[40:41], v[38:39]
	v_fma_f64 v[40:41], v[204:205], s[12:13], v[38:39]
	;; [unrolled: 1-line block ×3, first 2 shown]
	v_fma_f64 v[136:137], v[64:65], s[26:27], -v[136:137]
	v_add_f64 v[4:5], v[36:37], v[4:5]
	v_mul_f64 v[36:37], v[206:207], s[18:19]
	v_add_f64 v[0:1], v[40:41], v[0:1]
	v_mul_f64 v[40:41], v[222:223], s[16:17]
	v_add_f64 v[14:15], v[138:139], v[14:15]
	v_mul_f64 v[138:139], v[66:67], s[26:27]
	v_add_f64 v[10:11], v[136:137], v[10:11]
	v_fma_f64 v[38:39], v[220:221], s[16:17], v[36:37]
	v_fma_f64 v[36:37], v[220:221], s[16:17], -v[36:37]
	v_fma_f64 v[42:43], v[204:205], s[28:29], v[40:41]
	v_fma_f64 v[40:41], v[204:205], s[18:19], v[40:41]
	;; [unrolled: 1-line block ×4, first 2 shown]
	v_add_f64 v[38:39], v[38:39], v[238:239]
	v_add_f64 v[36:37], v[36:37], v[234:235]
	;; [unrolled: 1-line block ×5, first 2 shown]
	v_mul_f64 v[136:137], v[70:71], s[2:3]
	v_add_f64 v[8:9], v[156:157], v[8:9]
	v_fma_f64 v[138:139], v[64:65], s[0:1], v[136:137]
	v_fma_f64 v[136:137], v[64:65], s[0:1], -v[136:137]
	v_add_f64 v[6:7], v[138:139], v[6:7]
	v_mul_f64 v[138:139], v[66:67], s[0:1]
	v_add_f64 v[2:3], v[136:137], v[2:3]
	v_fma_f64 v[136:137], v[68:69], s[2:3], v[138:139]
	v_fma_f64 v[156:157], v[68:69], s[20:21], v[138:139]
	v_add_f64 v[4:5], v[136:137], v[4:5]
	v_mul_f64 v[136:137], v[70:71], s[44:45]
	v_add_f64 v[0:1], v[156:157], v[0:1]
	v_fma_f64 v[138:139], v[64:65], s[38:39], v[136:137]
	v_fma_f64 v[136:137], v[64:65], s[38:39], -v[136:137]
	v_add_f64 v[38:39], v[138:139], v[38:39]
	v_mul_f64 v[138:139], v[66:67], s[38:39]
	v_add_f64 v[36:37], v[136:137], v[36:37]
	v_fma_f64 v[136:137], v[68:69], s[44:45], v[138:139]
	v_fma_f64 v[156:157], v[68:69], s[50:51], v[138:139]
	v_add_f64 v[40:41], v[136:137], v[40:41]
	;; [unrolled: 10-line block ×3, first 2 shown]
	v_mul_f64 v[136:137], v[70:71], s[12:13]
	v_add_f64 v[50:51], v[156:157], v[50:51]
	v_fma_f64 v[138:139], v[64:65], s[4:5], v[136:137]
	v_add_f64 v[54:55], v[138:139], v[54:55]
	v_mul_f64 v[138:139], v[66:67], s[4:5]
	v_fma_f64 v[156:157], v[68:69], s[40:41], v[138:139]
	v_add_f64 v[200:201], v[156:157], v[24:25]
	v_fma_f64 v[24:25], v[64:65], s[4:5], -v[136:137]
	v_add_f64 v[26:27], v[24:25], v[26:27]
	v_fma_f64 v[24:25], v[68:69], s[12:13], v[138:139]
	v_add_f64 v[136:137], v[24:25], v[28:29]
	v_mul_f64 v[24:25], v[70:71], s[48:49]
	v_fma_f64 v[28:29], v[64:65], s[46:47], v[24:25]
	v_fma_f64 v[24:25], v[64:65], s[46:47], -v[24:25]
	v_add_f64 v[138:139], v[28:29], v[30:31]
	v_mul_f64 v[28:29], v[66:67], s[46:47]
	v_add_f64 v[204:205], v[24:25], v[34:35]
	v_fma_f64 v[24:25], v[68:69], s[48:49], v[28:29]
	v_fma_f64 v[30:31], v[68:69], s[52:53], v[28:29]
	v_add_f64 v[52:53], v[24:25], v[52:53]
	v_mul_f64 v[24:25], v[70:71], s[28:29]
	v_add_f64 v[70:71], v[150:151], -v[154:155]
	v_add_f64 v[202:203], v[30:31], v[32:33]
	v_fma_f64 v[28:29], v[64:65], s[16:17], v[24:25]
	v_fma_f64 v[24:25], v[64:65], s[16:17], -v[24:25]
	v_add_f64 v[64:65], v[148:149], v[152:153]
	v_add_f64 v[58:59], v[28:29], v[58:59]
	v_mul_f64 v[28:29], v[66:67], s[16:17]
	v_add_f64 v[56:57], v[24:25], v[56:57]
	v_add_f64 v[66:67], v[150:151], v[154:155]
	v_fma_f64 v[24:25], v[68:69], s[28:29], v[28:29]
	v_fma_f64 v[30:31], v[68:69], s[18:19], v[28:29]
	v_add_f64 v[68:69], v[148:149], -v[152:153]
	v_add_f64 v[60:61], v[24:25], v[60:61]
	v_mul_f64 v[24:25], v[70:71], s[44:45]
	v_add_f64 v[62:63], v[30:31], v[62:63]
	v_fma_f64 v[28:29], v[64:65], s[38:39], v[24:25]
	v_add_f64 v[148:149], v[28:29], v[22:23]
	v_mul_f64 v[22:23], v[66:67], s[38:39]
	v_fma_f64 v[28:29], v[68:69], s[50:51], v[22:23]
	v_add_f64 v[150:151], v[28:29], v[16:17]
	v_fma_f64 v[16:17], v[64:65], s[38:39], -v[24:25]
	v_add_f64 v[206:207], v[16:17], v[18:19]
	v_fma_f64 v[16:17], v[68:69], s[44:45], v[22:23]
	v_add_f64 v[208:209], v[16:17], v[20:21]
	v_mul_f64 v[16:17], v[70:71], s[28:29]
	v_fma_f64 v[18:19], v[64:65], s[16:17], v[16:17]
	v_add_f64 v[210:211], v[18:19], v[14:15]
	v_mul_f64 v[14:15], v[66:67], s[16:17]
	v_fma_f64 v[18:19], v[68:69], s[18:19], v[14:15]
	v_add_f64 v[212:213], v[18:19], v[8:9]
	v_fma_f64 v[8:9], v[64:65], s[16:17], -v[16:17]
	v_add_f64 v[214:215], v[8:9], v[10:11]
	v_fma_f64 v[8:9], v[68:69], s[28:29], v[14:15]
	v_add_f64 v[216:217], v[8:9], v[12:13]
	v_mul_f64 v[8:9], v[70:71], s[24:25]
	v_fma_f64 v[10:11], v[64:65], s[22:23], v[8:9]
	v_add_f64 v[218:219], v[10:11], v[6:7]
	v_mul_f64 v[6:7], v[66:67], s[22:23]
	v_fma_f64 v[10:11], v[68:69], s[56:57], v[6:7]
	v_add_f64 v[32:33], v[10:11], v[0:1]
	v_fma_f64 v[0:1], v[64:65], s[22:23], -v[8:9]
	v_add_f64 v[10:11], v[142:143], v[146:147]
	v_add_f64 v[34:35], v[0:1], v[2:3]
	v_fma_f64 v[0:1], v[68:69], s[24:25], v[6:7]
	v_add_f64 v[6:7], v[140:141], v[144:145]
	v_add_f64 v[152:153], v[0:1], v[4:5]
	v_mul_f64 v[0:1], v[70:71], s[54:55]
	v_fma_f64 v[2:3], v[64:65], s[34:35], v[0:1]
	v_fma_f64 v[0:1], v[64:65], s[34:35], -v[0:1]
	v_add_f64 v[28:29], v[2:3], v[38:39]
	v_mul_f64 v[2:3], v[66:67], s[34:35]
	v_add_f64 v[22:23], v[0:1], v[36:37]
	v_fma_f64 v[0:1], v[68:69], s[54:55], v[2:3]
	v_fma_f64 v[4:5], v[68:69], s[36:37], v[2:3]
	v_add_f64 v[24:25], v[0:1], v[40:41]
	v_mul_f64 v[0:1], v[70:71], s[2:3]
	v_add_f64 v[20:21], v[4:5], v[42:43]
	v_fma_f64 v[2:3], v[64:65], s[0:1], v[0:1]
	v_fma_f64 v[0:1], v[64:65], s[0:1], -v[0:1]
	v_add_f64 v[30:31], v[2:3], v[46:47]
	v_mul_f64 v[2:3], v[66:67], s[0:1]
	v_add_f64 v[156:157], v[0:1], v[44:45]
	v_fma_f64 v[0:1], v[68:69], s[2:3], v[2:3]
	v_fma_f64 v[4:5], v[68:69], s[20:21], v[2:3]
	v_add_f64 v[158:159], v[0:1], v[48:49]
	v_mul_f64 v[0:1], v[70:71], s[48:49]
	v_add_f64 v[154:155], v[4:5], v[50:51]
	v_add_f64 v[48:49], v[142:143], -v[146:147]
	v_fma_f64 v[2:3], v[64:65], s[46:47], v[0:1]
	v_fma_f64 v[0:1], v[64:65], s[46:47], -v[0:1]
	v_mul_f64 v[36:37], v[48:49], s[48:49]
	v_add_f64 v[40:41], v[2:3], v[54:55]
	v_mul_f64 v[2:3], v[66:67], s[46:47]
	v_add_f64 v[44:45], v[0:1], v[26:27]
	v_fma_f64 v[38:39], v[6:7], s[46:47], v[36:37]
	v_fma_f64 v[36:37], v[6:7], s[46:47], -v[36:37]
	v_fma_f64 v[0:1], v[68:69], s[48:49], v[2:3]
	v_fma_f64 v[4:5], v[68:69], s[52:53], v[2:3]
	v_add_f64 v[46:47], v[0:1], v[136:137]
	v_mul_f64 v[0:1], v[70:71], s[40:41]
	v_add_f64 v[42:43], v[4:5], v[200:201]
	v_fma_f64 v[2:3], v[64:65], s[4:5], v[0:1]
	v_fma_f64 v[0:1], v[64:65], s[4:5], -v[0:1]
	v_add_f64 v[26:27], v[2:3], v[138:139]
	v_mul_f64 v[2:3], v[66:67], s[4:5]
	v_add_f64 v[16:17], v[0:1], v[204:205]
	v_fma_f64 v[0:1], v[68:69], s[40:41], v[2:3]
	v_fma_f64 v[4:5], v[68:69], s[12:13], v[2:3]
	v_add_f64 v[18:19], v[0:1], v[52:53]
	v_mul_f64 v[0:1], v[70:71], s[30:31]
	v_add_f64 v[14:15], v[4:5], v[202:203]
	v_mul_f64 v[52:53], v[10:11], s[38:39]
	v_fma_f64 v[2:3], v[64:65], s[26:27], v[0:1]
	v_fma_f64 v[0:1], v[64:65], s[26:27], -v[0:1]
	v_add_f64 v[12:13], v[2:3], v[58:59]
	v_mul_f64 v[2:3], v[66:67], s[26:27]
	v_fma_f64 v[4:5], v[68:69], s[42:43], v[2:3]
	v_add_f64 v[8:9], v[4:5], v[62:63]
	v_add_f64 v[4:5], v[0:1], v[56:57]
	v_fma_f64 v[0:1], v[68:69], s[30:31], v[2:3]
	v_add_f64 v[2:3], v[140:141], -v[144:145]
	v_add_f64 v[144:145], v[38:39], v[148:149]
	v_mul_f64 v[38:39], v[10:11], s[46:47]
	v_add_f64 v[140:141], v[36:37], v[206:207]
	v_add_f64 v[0:1], v[0:1], v[60:61]
	v_fma_f64 v[36:37], v[2:3], s[48:49], v[38:39]
	v_fma_f64 v[50:51], v[2:3], s[52:53], v[38:39]
	v_add_f64 v[142:143], v[36:37], v[208:209]
	v_mul_f64 v[36:37], v[48:49], s[20:21]
	v_add_f64 v[146:147], v[50:51], v[150:151]
	v_fma_f64 v[38:39], v[6:7], s[0:1], v[36:37]
	v_fma_f64 v[36:37], v[6:7], s[0:1], -v[36:37]
	v_add_f64 v[136:137], v[38:39], v[210:211]
	v_mul_f64 v[38:39], v[10:11], s[0:1]
	v_add_f64 v[148:149], v[36:37], v[214:215]
	v_fma_f64 v[50:51], v[2:3], s[2:3], v[38:39]
	v_fma_f64 v[36:37], v[2:3], s[20:21], v[38:39]
	;; [unrolled: 1-line block ×3, first 2 shown]
	v_add_f64 v[138:139], v[50:51], v[212:213]
	v_mul_f64 v[50:51], v[48:49], s[44:45]
	v_add_f64 v[150:151], v[36:37], v[216:217]
	v_add_f64 v[38:39], v[38:39], v[32:33]
	v_fma_f64 v[36:37], v[6:7], s[38:39], v[50:51]
	v_fma_f64 v[32:33], v[6:7], s[38:39], -v[50:51]
	v_mul_f64 v[50:51], v[48:49], s[40:41]
	v_add_f64 v[36:37], v[36:37], v[218:219]
	v_add_f64 v[32:33], v[32:33], v[34:35]
	v_fma_f64 v[34:35], v[2:3], s[44:45], v[52:53]
	v_fma_f64 v[52:53], v[6:7], s[4:5], v[50:51]
	v_add_f64 v[34:35], v[34:35], v[152:153]
	v_add_f64 v[200:201], v[52:53], v[28:29]
	v_mul_f64 v[28:29], v[10:11], s[4:5]
	v_fma_f64 v[52:53], v[2:3], s[12:13], v[28:29]
	v_add_f64 v[202:203], v[52:53], v[20:21]
	v_fma_f64 v[20:21], v[6:7], s[4:5], -v[50:51]
	v_mul_f64 v[50:51], v[10:11], s[34:35]
	v_add_f64 v[20:21], v[20:21], v[22:23]
	v_fma_f64 v[22:23], v[2:3], s[40:41], v[28:29]
	v_add_f64 v[22:23], v[22:23], v[24:25]
	v_mul_f64 v[24:25], v[48:49], s[36:37]
	v_fma_f64 v[28:29], v[6:7], s[34:35], v[24:25]
	v_fma_f64 v[24:25], v[6:7], s[34:35], -v[24:25]
	v_add_f64 v[28:29], v[28:29], v[30:31]
	v_fma_f64 v[30:31], v[2:3], s[54:55], v[50:51]
	v_add_f64 v[152:153], v[24:25], v[156:157]
	v_fma_f64 v[24:25], v[2:3], s[36:37], v[50:51]
	v_add_f64 v[30:31], v[30:31], v[154:155]
	v_add_f64 v[154:155], v[24:25], v[158:159]
	v_mul_f64 v[24:25], v[48:49], s[28:29]
	v_fma_f64 v[50:51], v[6:7], s[16:17], v[24:25]
	v_fma_f64 v[24:25], v[6:7], s[16:17], -v[24:25]
	v_add_f64 v[156:157], v[50:51], v[40:41]
	v_mul_f64 v[40:41], v[10:11], s[16:17]
	v_add_f64 v[204:205], v[24:25], v[44:45]
	v_fma_f64 v[50:51], v[2:3], s[18:19], v[40:41]
	v_fma_f64 v[24:25], v[2:3], s[28:29], v[40:41]
	v_mul_f64 v[40:41], v[48:49], s[30:31]
	v_add_f64 v[158:159], v[50:51], v[42:43]
	v_add_f64 v[206:207], v[24:25], v[46:47]
	v_fma_f64 v[24:25], v[6:7], s[26:27], v[40:41]
	v_mul_f64 v[42:43], v[10:11], s[26:27]
	v_mul_f64 v[10:11], v[10:11], s[22:23]
	v_add_f64 v[24:25], v[24:25], v[26:27]
	v_fma_f64 v[26:27], v[2:3], s[42:43], v[42:43]
	v_add_f64 v[26:27], v[26:27], v[14:15]
	v_fma_f64 v[14:15], v[6:7], s[26:27], -v[40:41]
	v_add_f64 v[14:15], v[14:15], v[16:17]
	v_fma_f64 v[16:17], v[2:3], s[30:31], v[42:43]
	v_add_f64 v[16:17], v[16:17], v[18:19]
	v_mul_f64 v[18:19], v[48:49], s[56:57]
	v_fma_f64 v[40:41], v[6:7], s[22:23], v[18:19]
	v_fma_f64 v[6:7], v[6:7], s[22:23], -v[18:19]
	v_add_f64 v[208:209], v[40:41], v[12:13]
	v_fma_f64 v[12:13], v[2:3], s[24:25], v[10:11]
	v_fma_f64 v[2:3], v[2:3], s[56:57], v[10:11]
	v_add_f64 v[4:5], v[6:7], v[4:5]
	v_add_f64 v[210:211], v[12:13], v[8:9]
	;; [unrolled: 1-line block ×3, first 2 shown]
	s_clause 0x3
	buffer_load_dword v0, off, s[60:63], 0 offset:1312
	buffer_load_dword v1, off, s[60:63], 0 offset:1316
	;; [unrolled: 1-line block ×4, first 2 shown]
	s_waitcnt vmcnt(0)
	ds_write_b128 v254, v[0:3]
	ds_write_b128 v254, v[144:147] offset:16
	ds_write_b128 v254, v[136:139] offset:32
	;; [unrolled: 1-line block ×16, first 2 shown]
	s_and_saveexec_b32 s33, vcc_lo
	s_cbranch_execz .LBB0_13
; %bb.12:
	v_mov_b32_e32 v159, v79
	v_add_f64 v[250:251], v[120:121], -v[76:77]
	v_add_f64 v[238:239], v[122:123], v[78:79]
	v_mov_b32_e32 v158, v78
	v_mov_b32_e32 v157, v77
	;; [unrolled: 1-line block ×3, first 2 shown]
	s_clause 0x3
	buffer_load_dword v76, off, s[60:63], 0 offset:4
	buffer_load_dword v77, off, s[60:63], 0 offset:8
	;; [unrolled: 1-line block ×4, first 2 shown]
	v_mov_b32_e32 v30, v72
	v_mov_b32_e32 v31, v73
	;; [unrolled: 1-line block ×4, first 2 shown]
	buffer_store_dword v30, off, s[60:63], 0 offset:1368 ; 4-byte Folded Spill
	buffer_store_dword v31, off, s[60:63], 0 offset:1372 ; 4-byte Folded Spill
	buffer_store_dword v32, off, s[60:63], 0 offset:1376 ; 4-byte Folded Spill
	buffer_store_dword v33, off, s[60:63], 0 offset:1380 ; 4-byte Folded Spill
	v_add_f64 v[252:253], v[128:129], -v[72:73]
	v_add_f64 v[240:241], v[130:131], v[74:75]
	v_add_f64 v[248:249], v[116:117], -v[80:81]
	v_add_f64 v[246:247], v[112:113], -v[84:85]
	v_add_f64 v[236:237], v[118:119], v[82:83]
	v_add_f64 v[242:243], v[108:109], -v[88:89]
	v_add_f64 v[234:235], v[114:115], v[86:87]
	v_mul_f64 v[44:45], v[250:251], s[44:45]
	v_add_f64 v[28:29], v[122:123], -v[158:159]
	v_add_f64 v[222:223], v[104:105], -v[92:93]
	v_add_f64 v[232:233], v[110:111], v[90:91]
	v_add_f64 v[26:27], v[118:119], -v[82:83]
	v_add_f64 v[220:221], v[100:101], -v[96:97]
	v_add_f64 v[230:231], v[106:107], v[94:95]
	v_add_f64 v[24:25], v[114:115], -v[86:87]
	v_add_f64 v[228:229], v[102:103], v[98:99]
	v_add_f64 v[22:23], v[110:111], -v[90:91]
	v_add_f64 v[20:21], v[106:107], -v[94:95]
	;; [unrolled: 1-line block ×3, first 2 shown]
	v_mul_f64 v[46:47], v[252:253], s[20:21]
	v_mul_f64 v[42:43], v[248:249], s[40:41]
	;; [unrolled: 1-line block ×4, first 2 shown]
	v_fma_f64 v[10:11], v[238:239], s[38:39], v[44:45]
	v_mul_f64 v[70:71], v[28:29], s[44:45]
	v_mul_f64 v[36:37], v[222:223], s[30:31]
	v_fma_f64 v[44:45], v[238:239], s[38:39], -v[44:45]
	v_mul_f64 v[66:67], v[26:27], s[40:41]
	v_mul_f64 v[34:35], v[220:221], s[56:57]
	;; [unrolled: 1-line block ×9, first 2 shown]
	v_fma_f64 v[12:13], v[240:241], s[0:1], v[46:47]
	v_fma_f64 v[46:47], v[240:241], s[0:1], -v[46:47]
	v_fma_f64 v[8:9], v[236:237], s[4:5], v[42:43]
	v_fma_f64 v[6:7], v[234:235], s[34:35], v[40:41]
	v_fma_f64 v[42:43], v[236:237], s[4:5], -v[42:43]
	v_fma_f64 v[4:5], v[232:233], s[16:17], v[38:39]
	v_fma_f64 v[40:41], v[234:235], s[34:35], -v[40:41]
	v_fma_f64 v[38:39], v[232:233], s[16:17], -v[38:39]
	v_fma_f64 v[2:3], v[230:231], s[26:27], v[36:37]
	v_fma_f64 v[36:37], v[230:231], s[26:27], -v[36:37]
	v_fma_f64 v[0:1], v[228:229], s[22:23], v[34:35]
	v_fma_f64 v[34:35], v[228:229], s[22:23], -v[34:35]
	s_waitcnt vmcnt(2)
	v_add_f64 v[16:17], v[132:133], -v[76:77]
	s_waitcnt vmcnt(0)
	v_add_f64 v[254:255], v[134:135], v[78:79]
	v_mul_f64 v[48:49], v[16:17], s[48:49]
	v_fma_f64 v[14:15], v[254:255], s[46:47], v[48:49]
	v_fma_f64 v[48:49], v[254:255], s[46:47], -v[48:49]
	v_add_f64 v[14:15], v[126:127], v[14:15]
	v_add_f64 v[48:49], v[126:127], v[48:49]
	;; [unrolled: 1-line block ×7, first 2 shown]
	v_add_f64 v[30:31], v[130:131], -v[32:33]
	v_add_f64 v[32:33], v[134:135], -v[78:79]
	v_add_f64 v[44:45], v[44:45], v[46:47]
	v_add_f64 v[8:9], v[8:9], v[10:11]
	;; [unrolled: 1-line block ×3, first 2 shown]
	v_mul_f64 v[138:139], v[30:31], s[20:21]
	v_mul_f64 v[142:143], v[32:33], s[48:49]
	v_add_f64 v[42:43], v[42:43], v[44:45]
	v_mul_f64 v[152:153], v[32:33], s[36:37]
	v_mul_f64 v[208:209], v[32:33], s[30:31]
	;; [unrolled: 1-line block ×5, first 2 shown]
	v_add_f64 v[6:7], v[6:7], v[8:9]
	v_add_f64 v[8:9], v[116:117], v[80:81]
	v_fma_f64 v[140:141], v[12:13], s[0:1], -v[138:139]
	v_fma_f64 v[144:145], v[14:15], s[46:47], -v[142:143]
	;; [unrolled: 1-line block ×3, first 2 shown]
	v_fma_f64 v[48:49], v[14:15], s[46:47], v[142:143]
	v_fma_f64 v[46:47], v[12:13], s[0:1], v[138:139]
	;; [unrolled: 1-line block ×3, first 2 shown]
	v_add_f64 v[40:41], v[40:41], v[42:43]
	v_mul_f64 v[138:139], v[30:31], s[28:29]
	v_mul_f64 v[70:71], v[28:29], s[24:25]
	v_fma_f64 v[154:155], v[14:15], s[34:35], -v[152:153]
	v_fma_f64 v[218:219], v[14:15], s[16:17], -v[216:217]
	;; [unrolled: 1-line block ×4, first 2 shown]
	v_add_f64 v[4:5], v[4:5], v[6:7]
	v_add_f64 v[6:7], v[112:113], v[84:85]
	v_fma_f64 v[68:69], v[8:9], s[4:5], -v[66:67]
	v_add_f64 v[144:145], v[124:125], v[144:145]
	v_fma_f64 v[42:43], v[8:9], s[4:5], v[66:67]
	v_add_f64 v[48:49], v[124:125], v[48:49]
	v_mul_f64 v[66:67], v[26:27], s[54:55]
	v_add_f64 v[38:39], v[38:39], v[40:41]
	v_add_f64 v[154:155], v[124:125], v[154:155]
	v_add_f64 v[218:219], v[124:125], v[218:219]
	v_add_f64 v[2:3], v[2:3], v[4:5]
	v_add_f64 v[4:5], v[108:109], v[88:89]
	v_fma_f64 v[64:65], v[6:7], s[34:35], -v[62:63]
	v_add_f64 v[140:141], v[140:141], v[144:145]
	v_fma_f64 v[40:41], v[6:7], s[34:35], v[62:63]
	v_add_f64 v[46:47], v[46:47], v[48:49]
	v_mul_f64 v[62:63], v[16:17], s[44:45]
	v_mul_f64 v[144:145], v[32:33], s[44:45]
	v_add_f64 v[36:37], v[36:37], v[38:39]
	v_add_f64 v[214:215], v[214:215], v[218:219]
	;; [unrolled: 1-line block ×4, first 2 shown]
	v_fma_f64 v[60:61], v[4:5], s[16:17], -v[58:59]
	v_add_f64 v[136:137], v[136:137], v[140:141]
	v_add_f64 v[0:1], v[100:101], v[96:97]
	;; [unrolled: 1-line block ×3, first 2 shown]
	v_fma_f64 v[38:39], v[4:5], s[16:17], v[58:59]
	v_mul_f64 v[58:59], v[252:253], s[28:29]
	v_fma_f64 v[146:147], v[14:15], s[38:39], -v[144:145]
	v_mul_f64 v[46:47], v[246:247], s[2:3]
	v_fma_f64 v[140:141], v[12:13], s[16:17], -v[138:139]
	v_fma_f64 v[56:57], v[2:3], s[26:27], -v[54:55]
	v_add_f64 v[68:69], v[68:69], v[136:137]
	v_fma_f64 v[52:53], v[0:1], s[22:23], -v[50:51]
	v_add_f64 v[42:43], v[42:43], v[44:45]
	;; [unrolled: 2-line block ×3, first 2 shown]
	v_fma_f64 v[48:49], v[234:235], s[0:1], v[46:47]
	v_add_f64 v[64:65], v[64:65], v[68:69]
	v_fma_f64 v[68:69], v[8:9], s[34:35], -v[66:67]
	v_add_f64 v[40:41], v[40:41], v[42:43]
	v_mul_f64 v[42:43], v[242:243], s[48:49]
	v_add_f64 v[140:141], v[140:141], v[146:147]
	v_add_f64 v[60:61], v[60:61], v[64:65]
	v_fma_f64 v[64:65], v[254:255], s[38:39], v[62:63]
	v_add_f64 v[38:39], v[38:39], v[40:41]
	v_fma_f64 v[44:45], v[232:233], s[46:47], v[42:43]
	v_add_f64 v[136:137], v[136:137], v[140:141]
	v_add_f64 v[56:57], v[56:57], v[60:61]
	v_fma_f64 v[60:61], v[240:241], s[16:17], v[58:59]
	v_add_f64 v[64:65], v[126:127], v[64:65]
	v_add_f64 v[68:69], v[68:69], v[136:137]
	;; [unrolled: 1-line block ×4, first 2 shown]
	v_fma_f64 v[36:37], v[2:3], s[26:27], v[54:55]
	v_fma_f64 v[34:35], v[0:1], s[22:23], v[50:51]
	v_mul_f64 v[54:55], v[250:251], s[24:25]
	v_add_f64 v[60:61], v[60:61], v[64:65]
	buffer_store_dword v72, off, s[60:63], 0 offset:1312 ; 4-byte Folded Spill
	buffer_store_dword v73, off, s[60:63], 0 offset:1316 ; 4-byte Folded Spill
	buffer_store_dword v74, off, s[60:63], 0 offset:1320 ; 4-byte Folded Spill
	buffer_store_dword v75, off, s[60:63], 0 offset:1324 ; 4-byte Folded Spill
	v_add_f64 v[36:37], v[36:37], v[38:39]
	v_mul_f64 v[38:39], v[222:223], s[40:41]
	v_fma_f64 v[56:57], v[238:239], s[22:23], v[54:55]
	v_add_f64 v[50:51], v[34:35], v[36:37]
	v_mul_f64 v[34:35], v[220:221], s[30:31]
	v_add_f64 v[56:57], v[56:57], v[60:61]
	v_mul_f64 v[60:61], v[24:25], s[2:3]
	v_fma_f64 v[40:41], v[230:231], s[4:5], v[38:39]
	v_fma_f64 v[38:39], v[230:231], s[4:5], -v[38:39]
	buffer_store_dword v50, off, s[60:63], 0 offset:1336 ; 4-byte Folded Spill
	buffer_store_dword v51, off, s[60:63], 0 offset:1340 ; 4-byte Folded Spill
	buffer_store_dword v52, off, s[60:63], 0 offset:1344 ; 4-byte Folded Spill
	buffer_store_dword v53, off, s[60:63], 0 offset:1348 ; 4-byte Folded Spill
	v_mul_f64 v[50:51], v[248:249], s[54:55]
	v_fma_f64 v[36:37], v[228:229], s[26:27], v[34:35]
	v_fma_f64 v[64:65], v[6:7], s[0:1], -v[60:61]
	v_fma_f64 v[34:35], v[228:229], s[26:27], -v[34:35]
	v_fma_f64 v[52:53], v[236:237], s[34:35], v[50:51]
	v_add_f64 v[64:65], v[64:65], v[68:69]
	v_add_f64 v[52:53], v[52:53], v[56:57]
	;; [unrolled: 1-line block ×3, first 2 shown]
	v_mul_f64 v[52:53], v[22:23], s[48:49]
	v_add_f64 v[44:45], v[44:45], v[48:49]
	v_fma_f64 v[56:57], v[4:5], s[46:47], -v[52:53]
	v_add_f64 v[40:41], v[40:41], v[44:45]
	v_mul_f64 v[44:45], v[20:21], s[40:41]
	v_add_f64 v[56:57], v[56:57], v[64:65]
	v_add_f64 v[74:75], v[36:37], v[40:41]
	v_mul_f64 v[36:37], v[18:19], s[30:31]
	v_fma_f64 v[48:49], v[2:3], s[4:5], -v[44:45]
	v_fma_f64 v[40:41], v[0:1], s[26:27], -v[36:37]
	v_add_f64 v[48:49], v[48:49], v[56:57]
	v_add_f64 v[72:73], v[40:41], v[48:49]
	v_fma_f64 v[48:49], v[238:239], s[22:23], -v[54:55]
	v_fma_f64 v[54:55], v[254:255], s[38:39], -v[62:63]
	;; [unrolled: 1-line block ×6, first 2 shown]
	v_mul_f64 v[62:63], v[16:17], s[36:37]
	v_mul_f64 v[58:59], v[252:253], s[42:43]
	buffer_store_dword v72, off, s[60:63], 0 offset:1352 ; 4-byte Folded Spill
	buffer_store_dword v73, off, s[60:63], 0 offset:1356 ; 4-byte Folded Spill
	buffer_store_dword v74, off, s[60:63], 0 offset:1360 ; 4-byte Folded Spill
	buffer_store_dword v75, off, s[60:63], 0 offset:1364 ; 4-byte Folded Spill
	v_mul_f64 v[72:73], v[32:33], s[12:13]
	v_add_f64 v[54:55], v[126:127], v[54:55]
	v_fma_f64 v[64:65], v[254:255], s[34:35], v[62:63]
	v_fma_f64 v[74:75], v[14:15], s[4:5], -v[72:73]
	v_add_f64 v[50:51], v[50:51], v[54:55]
	v_mul_f64 v[54:55], v[250:251], s[2:3]
	v_add_f64 v[64:65], v[126:127], v[64:65]
	v_add_f64 v[74:75], v[124:125], v[74:75]
	;; [unrolled: 1-line block ×3, first 2 shown]
	v_mul_f64 v[50:51], v[248:249], s[44:45]
	v_fma_f64 v[56:57], v[238:239], s[0:1], v[54:55]
	v_add_f64 v[74:75], v[226:227], v[74:75]
	v_add_f64 v[46:47], v[46:47], v[48:49]
	v_fma_f64 v[48:49], v[14:15], s[38:39], v[144:145]
	v_add_f64 v[42:43], v[42:43], v[46:47]
	v_fma_f64 v[46:47], v[12:13], s[16:17], v[138:139]
	v_add_f64 v[48:49], v[124:125], v[48:49]
	v_mul_f64 v[138:139], v[30:31], s[42:43]
	v_add_f64 v[40:41], v[40:41], v[42:43]
	v_fma_f64 v[42:43], v[8:9], s[34:35], v[66:67]
	v_add_f64 v[46:47], v[46:47], v[48:49]
	v_fma_f64 v[148:149], v[12:13], s[26:27], -v[138:139]
	v_mul_f64 v[66:67], v[26:27], s[44:45]
	v_add_f64 v[38:39], v[38:39], v[40:41]
	v_fma_f64 v[40:41], v[6:7], s[0:1], v[60:61]
	v_fma_f64 v[60:61], v[240:241], s[26:27], v[58:59]
	v_add_f64 v[148:149], v[148:149], v[154:155]
	v_fma_f64 v[68:69], v[8:9], s[38:39], -v[66:67]
	v_add_f64 v[146:147], v[34:35], v[38:39]
	v_fma_f64 v[34:35], v[0:1], s[26:27], v[36:37]
	v_fma_f64 v[36:37], v[2:3], s[4:5], v[44:45]
	;; [unrolled: 1-line block ×3, first 2 shown]
	v_add_f64 v[60:61], v[60:61], v[64:65]
	v_fma_f64 v[38:39], v[4:5], s[46:47], v[52:53]
	v_fma_f64 v[52:53], v[236:237], s[38:39], v[50:51]
	v_mul_f64 v[70:71], v[28:29], s[2:3]
	v_add_f64 v[44:45], v[44:45], v[46:47]
	v_mul_f64 v[46:47], v[246:247], s[56:57]
	v_add_f64 v[56:57], v[56:57], v[60:61]
	v_mul_f64 v[60:61], v[24:25], s[56:57]
	v_fma_f64 v[136:137], v[10:11], s[0:1], -v[70:71]
	v_add_f64 v[42:43], v[42:43], v[44:45]
	v_fma_f64 v[48:49], v[234:235], s[22:23], v[46:47]
	v_add_f64 v[52:53], v[52:53], v[56:57]
	v_fma_f64 v[64:65], v[6:7], s[22:23], -v[60:61]
	v_add_f64 v[136:137], v[136:137], v[148:149]
	v_add_f64 v[40:41], v[40:41], v[42:43]
	v_mul_f64 v[42:43], v[242:243], s[12:13]
	v_add_f64 v[48:49], v[48:49], v[52:53]
	v_mul_f64 v[52:53], v[22:23], s[12:13]
	;; [unrolled: 2-line block ×3, first 2 shown]
	v_add_f64 v[38:39], v[38:39], v[40:41]
	v_fma_f64 v[44:45], v[232:233], s[4:5], v[42:43]
	v_fma_f64 v[56:57], v[4:5], s[4:5], -v[52:53]
	v_add_f64 v[64:65], v[64:65], v[68:69]
	v_fma_f64 v[68:69], v[14:15], s[26:27], -v[208:209]
	v_add_f64 v[36:37], v[36:37], v[38:39]
	v_mul_f64 v[38:39], v[222:223], s[48:49]
	v_add_f64 v[44:45], v[44:45], v[48:49]
	v_add_f64 v[56:57], v[56:57], v[64:65]
	;; [unrolled: 1-line block ×4, first 2 shown]
	v_mul_f64 v[34:35], v[220:221], s[28:29]
	v_fma_f64 v[40:41], v[230:231], s[46:47], v[38:39]
	v_fma_f64 v[38:39], v[230:231], s[46:47], -v[38:39]
	v_fma_f64 v[36:37], v[228:229], s[16:17], v[34:35]
	v_add_f64 v[40:41], v[40:41], v[44:45]
	v_mul_f64 v[44:45], v[20:21], s[48:49]
	v_fma_f64 v[34:35], v[228:229], s[16:17], -v[34:35]
	v_add_f64 v[150:151], v[36:37], v[40:41]
	v_mul_f64 v[36:37], v[18:19], s[28:29]
	v_fma_f64 v[48:49], v[2:3], s[46:47], -v[44:45]
	v_fma_f64 v[40:41], v[0:1], s[16:17], -v[36:37]
	v_add_f64 v[48:49], v[48:49], v[56:57]
	v_add_f64 v[148:149], v[40:41], v[48:49]
	v_fma_f64 v[48:49], v[238:239], s[0:1], -v[54:55]
	v_fma_f64 v[54:55], v[254:255], s[34:35], -v[62:63]
	;; [unrolled: 1-line block ×6, first 2 shown]
	v_mul_f64 v[62:63], v[16:17], s[30:31]
	v_mul_f64 v[58:59], v[252:253], s[50:51]
	v_add_f64 v[54:55], v[126:127], v[54:55]
	v_fma_f64 v[64:65], v[254:255], s[26:27], v[62:63]
	v_add_f64 v[50:51], v[50:51], v[54:55]
	v_mul_f64 v[54:55], v[250:251], s[40:41]
	v_add_f64 v[64:65], v[126:127], v[64:65]
	v_add_f64 v[48:49], v[48:49], v[50:51]
	v_mul_f64 v[50:51], v[248:249], s[18:19]
	v_fma_f64 v[56:57], v[238:239], s[4:5], v[54:55]
	v_add_f64 v[46:47], v[46:47], v[48:49]
	v_fma_f64 v[48:49], v[14:15], s[34:35], v[152:153]
	v_add_f64 v[42:43], v[42:43], v[46:47]
	;; [unrolled: 2-line block ×3, first 2 shown]
	v_mul_f64 v[138:139], v[22:23], s[56:57]
	v_add_f64 v[40:41], v[40:41], v[42:43]
	v_fma_f64 v[42:43], v[8:9], s[38:39], v[66:67]
	v_add_f64 v[46:47], v[46:47], v[48:49]
	v_add_f64 v[38:39], v[38:39], v[40:41]
	v_fma_f64 v[40:41], v[6:7], s[22:23], v[60:61]
	v_fma_f64 v[60:61], v[240:241], s[38:39], v[58:59]
	v_add_f64 v[154:155], v[34:35], v[38:39]
	v_fma_f64 v[34:35], v[0:1], s[16:17], v[36:37]
	v_fma_f64 v[36:37], v[2:3], s[46:47], v[44:45]
	;; [unrolled: 1-line block ×3, first 2 shown]
	v_add_f64 v[60:61], v[60:61], v[64:65]
	v_mul_f64 v[64:65], v[30:31], s[50:51]
	v_fma_f64 v[38:39], v[4:5], s[4:5], v[52:53]
	v_fma_f64 v[52:53], v[236:237], s[16:17], v[50:51]
	v_mul_f64 v[70:71], v[28:29], s[42:43]
	v_add_f64 v[44:45], v[44:45], v[46:47]
	v_mul_f64 v[46:47], v[246:247], s[48:49]
	v_add_f64 v[56:57], v[56:57], v[60:61]
	v_fma_f64 v[66:67], v[12:13], s[38:39], -v[64:65]
	v_fma_f64 v[60:61], v[10:11], s[4:5], -v[206:207]
	v_add_f64 v[42:43], v[42:43], v[44:45]
	v_fma_f64 v[48:49], v[234:235], s[46:47], v[46:47]
	v_add_f64 v[52:53], v[52:53], v[56:57]
	v_add_f64 v[66:67], v[66:67], v[68:69]
	v_fma_f64 v[56:57], v[8:9], s[16:17], -v[204:205]
	v_add_f64 v[40:41], v[40:41], v[42:43]
	v_mul_f64 v[42:43], v[242:243], s[56:57]
	v_add_f64 v[48:49], v[48:49], v[52:53]
	v_add_f64 v[60:61], v[60:61], v[66:67]
	v_fma_f64 v[52:53], v[6:7], s[46:47], -v[200:201]
	v_mul_f64 v[66:67], v[26:27], s[20:21]
	v_add_f64 v[38:39], v[38:39], v[40:41]
	v_fma_f64 v[44:45], v[232:233], s[22:23], v[42:43]
	v_add_f64 v[56:57], v[56:57], v[60:61]
	v_fma_f64 v[68:69], v[8:9], s[0:1], -v[66:67]
	v_add_f64 v[36:37], v[36:37], v[38:39]
	v_mul_f64 v[38:39], v[222:223], s[2:3]
	v_add_f64 v[44:45], v[44:45], v[48:49]
	v_fma_f64 v[48:49], v[4:5], s[22:23], -v[138:139]
	v_add_f64 v[52:53], v[52:53], v[56:57]
	v_add_f64 v[152:153], v[34:35], v[36:37]
	v_mul_f64 v[36:37], v[220:221], s[36:37]
	v_fma_f64 v[40:41], v[230:231], s[0:1], v[38:39]
	v_fma_f64 v[38:39], v[230:231], s[0:1], -v[38:39]
	v_add_f64 v[48:49], v[48:49], v[52:53]
	v_fma_f64 v[34:35], v[228:229], s[34:35], v[36:37]
	v_add_f64 v[40:41], v[40:41], v[44:45]
	v_fma_f64 v[44:45], v[2:3], s[0:1], -v[136:137]
	v_fma_f64 v[36:37], v[228:229], s[34:35], -v[36:37]
	v_add_f64 v[142:143], v[34:35], v[40:41]
	v_mul_f64 v[34:35], v[18:19], s[36:37]
	v_add_f64 v[44:45], v[44:45], v[48:49]
	v_fma_f64 v[48:49], v[240:241], s[38:39], -v[58:59]
	v_mul_f64 v[58:59], v[252:253], s[48:49]
	v_fma_f64 v[40:41], v[0:1], s[34:35], -v[34:35]
	v_fma_f64 v[34:35], v[0:1], s[34:35], v[34:35]
	v_fma_f64 v[60:61], v[240:241], s[46:47], v[58:59]
	v_add_f64 v[140:141], v[40:41], v[44:45]
	v_fma_f64 v[44:45], v[236:237], s[16:17], -v[50:51]
	v_fma_f64 v[50:51], v[254:255], s[26:27], -v[62:63]
	;; [unrolled: 1-line block ×5, first 2 shown]
	v_mul_f64 v[62:63], v[16:17], s[24:25]
	v_mul_f64 v[54:55], v[250:251], s[42:43]
	v_add_f64 v[50:51], v[126:127], v[50:51]
	v_fma_f64 v[56:57], v[238:239], s[26:27], v[54:55]
	v_add_f64 v[48:49], v[48:49], v[50:51]
	v_mul_f64 v[50:51], v[248:249], s[20:21]
	v_add_f64 v[46:47], v[46:47], v[48:49]
	v_fma_f64 v[48:49], v[14:15], s[26:27], v[208:209]
	v_mul_f64 v[208:209], v[32:33], s[24:25]
	v_fma_f64 v[52:53], v[236:237], s[0:1], v[50:51]
	v_mul_f64 v[32:33], v[32:33], s[2:3]
	v_add_f64 v[44:45], v[44:45], v[46:47]
	v_fma_f64 v[46:47], v[12:13], s[38:39], v[64:65]
	v_add_f64 v[48:49], v[124:125], v[48:49]
	v_fma_f64 v[64:65], v[254:255], s[22:23], v[62:63]
	v_fma_f64 v[210:211], v[14:15], s[22:23], -v[208:209]
	v_add_f64 v[42:43], v[42:43], v[44:45]
	v_fma_f64 v[44:45], v[10:11], s[4:5], v[206:207]
	v_add_f64 v[46:47], v[46:47], v[48:49]
	v_add_f64 v[64:65], v[126:127], v[64:65]
	v_add_f64 v[210:211], v[124:125], v[210:211]
	v_add_f64 v[40:41], v[40:41], v[42:43]
	v_fma_f64 v[42:43], v[8:9], s[16:17], v[204:205]
	v_add_f64 v[44:45], v[44:45], v[46:47]
	v_add_f64 v[60:61], v[60:61], v[64:65]
	v_mul_f64 v[46:47], v[246:247], s[18:19]
	v_add_f64 v[38:39], v[38:39], v[40:41]
	v_fma_f64 v[40:41], v[6:7], s[46:47], v[200:201]
	v_add_f64 v[42:43], v[42:43], v[44:45]
	v_add_f64 v[56:57], v[56:57], v[60:61]
	v_fma_f64 v[48:49], v[234:235], s[16:17], v[46:47]
	v_mul_f64 v[60:61], v[24:25], s[18:19]
	v_add_f64 v[202:203], v[36:37], v[38:39]
	v_fma_f64 v[38:39], v[4:5], s[22:23], v[138:139]
	v_mul_f64 v[138:139], v[30:31], s[48:49]
	;; [unrolled: 3-line block ×3, first 2 shown]
	v_add_f64 v[52:53], v[52:53], v[56:57]
	v_fma_f64 v[136:137], v[10:11], s[26:27], -v[70:71]
	v_fma_f64 v[64:65], v[6:7], s[16:17], -v[60:61]
	v_mul_f64 v[30:31], v[30:31], s[12:13]
	v_fma_f64 v[204:205], v[12:13], s[46:47], -v[138:139]
	v_add_f64 v[38:39], v[38:39], v[40:41]
	v_fma_f64 v[44:45], v[232:233], s[38:39], v[42:43]
	v_add_f64 v[48:49], v[48:49], v[52:53]
	v_mul_f64 v[52:53], v[22:23], s[44:45]
	v_add_f64 v[204:205], v[204:205], v[210:211]
	v_add_f64 v[36:37], v[36:37], v[38:39]
	v_mul_f64 v[38:39], v[222:223], s[54:55]
	v_add_f64 v[44:45], v[44:45], v[48:49]
	v_fma_f64 v[56:57], v[4:5], s[38:39], -v[52:53]
	v_add_f64 v[136:137], v[136:137], v[204:205]
	v_add_f64 v[200:201], v[34:35], v[36:37]
	v_mul_f64 v[34:35], v[220:221], s[40:41]
	v_fma_f64 v[40:41], v[230:231], s[34:35], v[38:39]
	v_fma_f64 v[38:39], v[230:231], s[34:35], -v[38:39]
	v_add_f64 v[68:69], v[68:69], v[136:137]
	v_fma_f64 v[36:37], v[228:229], s[4:5], v[34:35]
	v_add_f64 v[40:41], v[40:41], v[44:45]
	v_mul_f64 v[44:45], v[20:21], s[54:55]
	v_fma_f64 v[34:35], v[228:229], s[4:5], -v[34:35]
	v_add_f64 v[64:65], v[64:65], v[68:69]
	v_add_f64 v[206:207], v[36:37], v[40:41]
	v_mul_f64 v[36:37], v[18:19], s[40:41]
	v_fma_f64 v[48:49], v[2:3], s[34:35], -v[44:45]
	v_add_f64 v[56:57], v[56:57], v[64:65]
	v_fma_f64 v[40:41], v[0:1], s[4:5], -v[36:37]
	v_add_f64 v[48:49], v[48:49], v[56:57]
	v_add_f64 v[204:205], v[40:41], v[48:49]
	v_fma_f64 v[48:49], v[238:239], s[26:27], -v[54:55]
	v_fma_f64 v[54:55], v[254:255], s[22:23], -v[62:63]
	;; [unrolled: 1-line block ×6, first 2 shown]
	v_mul_f64 v[62:63], v[16:17], s[18:19]
	v_mul_f64 v[58:59], v[252:253], s[36:37]
	v_add_f64 v[54:55], v[126:127], v[54:55]
	v_fma_f64 v[64:65], v[254:255], s[16:17], v[62:63]
	v_add_f64 v[50:51], v[50:51], v[54:55]
	v_mul_f64 v[54:55], v[250:251], s[52:53]
	v_add_f64 v[64:65], v[126:127], v[64:65]
	v_add_f64 v[48:49], v[48:49], v[50:51]
	v_mul_f64 v[50:51], v[248:249], s[42:43]
	v_fma_f64 v[56:57], v[238:239], s[46:47], v[54:55]
	v_add_f64 v[46:47], v[46:47], v[48:49]
	v_fma_f64 v[48:49], v[14:15], s[22:23], v[208:209]
	v_add_f64 v[42:43], v[42:43], v[46:47]
	v_fma_f64 v[46:47], v[12:13], s[46:47], v[138:139]
	v_add_f64 v[48:49], v[124:125], v[48:49]
	v_add_f64 v[40:41], v[40:41], v[42:43]
	v_fma_f64 v[42:43], v[8:9], s[0:1], v[66:67]
	v_add_f64 v[46:47], v[46:47], v[48:49]
	v_mul_f64 v[66:67], v[26:27], s[42:43]
	v_add_f64 v[38:39], v[38:39], v[40:41]
	v_fma_f64 v[40:41], v[6:7], s[16:17], v[60:61]
	v_fma_f64 v[60:61], v[240:241], s[34:35], v[58:59]
	v_fma_f64 v[68:69], v[8:9], s[26:27], -v[66:67]
	v_add_f64 v[210:211], v[34:35], v[38:39]
	v_fma_f64 v[34:35], v[0:1], s[4:5], v[36:37]
	v_fma_f64 v[36:37], v[2:3], s[34:35], v[44:45]
	;; [unrolled: 1-line block ×3, first 2 shown]
	v_add_f64 v[60:61], v[60:61], v[64:65]
	v_fma_f64 v[38:39], v[4:5], s[38:39], v[52:53]
	v_fma_f64 v[52:53], v[236:237], s[26:27], v[50:51]
	v_mul_f64 v[70:71], v[28:29], s[52:53]
	v_add_f64 v[44:45], v[44:45], v[46:47]
	v_mul_f64 v[46:47], v[246:247], s[40:41]
	v_add_f64 v[56:57], v[56:57], v[60:61]
	v_mul_f64 v[60:61], v[24:25], s[40:41]
	v_fma_f64 v[136:137], v[10:11], s[46:47], -v[70:71]
	v_add_f64 v[42:43], v[42:43], v[44:45]
	v_fma_f64 v[48:49], v[234:235], s[4:5], v[46:47]
	v_add_f64 v[52:53], v[52:53], v[56:57]
	v_fma_f64 v[64:65], v[6:7], s[4:5], -v[60:61]
	v_add_f64 v[136:137], v[136:137], v[214:215]
	v_add_f64 v[40:41], v[40:41], v[42:43]
	v_mul_f64 v[42:43], v[242:243], s[2:3]
	v_add_f64 v[48:49], v[48:49], v[52:53]
	v_mul_f64 v[52:53], v[22:23], s[2:3]
	v_add_f64 v[68:69], v[68:69], v[136:137]
	v_add_f64 v[38:39], v[38:39], v[40:41]
	v_fma_f64 v[44:45], v[232:233], s[0:1], v[42:43]
	v_fma_f64 v[56:57], v[4:5], s[0:1], -v[52:53]
	v_add_f64 v[64:65], v[64:65], v[68:69]
	v_add_f64 v[36:37], v[36:37], v[38:39]
	v_mul_f64 v[38:39], v[222:223], s[24:25]
	v_add_f64 v[44:45], v[44:45], v[48:49]
	v_add_f64 v[56:57], v[56:57], v[64:65]
	;; [unrolled: 1-line block ×3, first 2 shown]
	v_mul_f64 v[34:35], v[220:221], s[44:45]
	v_fma_f64 v[40:41], v[230:231], s[22:23], v[38:39]
	v_fma_f64 v[38:39], v[230:231], s[22:23], -v[38:39]
	v_fma_f64 v[36:37], v[228:229], s[38:39], v[34:35]
	v_add_f64 v[40:41], v[40:41], v[44:45]
	v_mul_f64 v[44:45], v[20:21], s[24:25]
	v_fma_f64 v[34:35], v[228:229], s[38:39], -v[34:35]
	v_add_f64 v[138:139], v[36:37], v[40:41]
	v_mul_f64 v[36:37], v[18:19], s[44:45]
	v_fma_f64 v[48:49], v[2:3], s[22:23], -v[44:45]
	v_fma_f64 v[40:41], v[0:1], s[38:39], -v[36:37]
	v_add_f64 v[48:49], v[48:49], v[56:57]
	v_add_f64 v[136:137], v[40:41], v[48:49]
	v_fma_f64 v[48:49], v[238:239], s[46:47], -v[54:55]
	v_fma_f64 v[54:55], v[254:255], s[16:17], -v[62:63]
	;; [unrolled: 1-line block ×6, first 2 shown]
	v_mul_f64 v[62:63], v[16:17], s[12:13]
	v_mul_f64 v[58:59], v[252:253], s[24:25]
	;; [unrolled: 1-line block ×3, first 2 shown]
	v_add_f64 v[54:55], v[126:127], v[54:55]
	v_fma_f64 v[64:65], v[254:255], s[4:5], v[62:63]
	v_add_f64 v[50:51], v[50:51], v[54:55]
	v_mul_f64 v[54:55], v[250:251], s[36:37]
	v_add_f64 v[64:65], v[126:127], v[64:65]
	v_add_f64 v[48:49], v[48:49], v[50:51]
	v_mul_f64 v[50:51], v[248:249], s[48:49]
	v_fma_f64 v[56:57], v[238:239], s[34:35], v[54:55]
	v_add_f64 v[46:47], v[46:47], v[48:49]
	v_fma_f64 v[48:49], v[14:15], s[16:17], v[216:217]
	v_add_f64 v[42:43], v[42:43], v[46:47]
	;; [unrolled: 2-line block ×3, first 2 shown]
	v_add_f64 v[40:41], v[40:41], v[42:43]
	v_fma_f64 v[42:43], v[8:9], s[26:27], v[66:67]
	v_add_f64 v[46:47], v[46:47], v[48:49]
	v_mul_f64 v[66:67], v[26:27], s[48:49]
	v_mul_f64 v[26:27], v[26:27], s[24:25]
	v_add_f64 v[38:39], v[38:39], v[40:41]
	v_fma_f64 v[40:41], v[6:7], s[4:5], v[60:61]
	v_fma_f64 v[60:61], v[240:241], s[22:23], v[58:59]
	v_fma_f64 v[68:69], v[8:9], s[46:47], -v[66:67]
	v_add_f64 v[218:219], v[34:35], v[38:39]
	v_fma_f64 v[34:35], v[0:1], s[38:39], v[36:37]
	v_fma_f64 v[36:37], v[2:3], s[22:23], v[44:45]
	;; [unrolled: 1-line block ×3, first 2 shown]
	v_add_f64 v[60:61], v[60:61], v[64:65]
	v_fma_f64 v[38:39], v[4:5], s[0:1], v[52:53]
	v_fma_f64 v[52:53], v[236:237], s[46:47], v[50:51]
	v_mul_f64 v[70:71], v[28:29], s[36:37]
	v_mul_f64 v[28:29], v[28:29], s[18:19]
	v_add_f64 v[44:45], v[44:45], v[46:47]
	v_mul_f64 v[46:47], v[246:247], s[50:51]
	v_add_f64 v[56:57], v[56:57], v[60:61]
	v_mul_f64 v[60:61], v[24:25], s[50:51]
	v_fma_f64 v[212:213], v[10:11], s[34:35], -v[70:71]
	v_mul_f64 v[24:25], v[24:25], s[30:31]
	v_add_f64 v[42:43], v[42:43], v[44:45]
	v_fma_f64 v[48:49], v[234:235], s[38:39], v[46:47]
	v_add_f64 v[52:53], v[52:53], v[56:57]
	v_fma_f64 v[64:65], v[6:7], s[38:39], -v[60:61]
	v_add_f64 v[74:75], v[212:213], v[74:75]
	v_add_f64 v[40:41], v[40:41], v[42:43]
	v_mul_f64 v[42:43], v[242:243], s[42:43]
	v_add_f64 v[48:49], v[48:49], v[52:53]
	v_mul_f64 v[52:53], v[22:23], s[42:43]
	;; [unrolled: 2-line block ×3, first 2 shown]
	v_add_f64 v[38:39], v[38:39], v[40:41]
	v_fma_f64 v[44:45], v[232:233], s[26:27], v[42:43]
	v_fma_f64 v[56:57], v[4:5], s[26:27], -v[52:53]
	v_add_f64 v[64:65], v[64:65], v[68:69]
	v_add_f64 v[36:37], v[36:37], v[38:39]
	v_mul_f64 v[38:39], v[222:223], s[28:29]
	v_add_f64 v[44:45], v[44:45], v[48:49]
	v_add_f64 v[56:57], v[56:57], v[64:65]
	;; [unrolled: 1-line block ×3, first 2 shown]
	v_mul_f64 v[34:35], v[220:221], s[20:21]
	v_fma_f64 v[40:41], v[230:231], s[16:17], v[38:39]
	v_fma_f64 v[38:39], v[230:231], s[16:17], -v[38:39]
	v_fma_f64 v[36:37], v[228:229], s[0:1], v[34:35]
	v_add_f64 v[40:41], v[40:41], v[44:45]
	v_mul_f64 v[44:45], v[20:21], s[28:29]
	v_fma_f64 v[34:35], v[228:229], s[0:1], -v[34:35]
	v_mul_f64 v[20:21], v[20:21], s[44:45]
	v_add_f64 v[214:215], v[36:37], v[40:41]
	v_mul_f64 v[36:37], v[18:19], s[20:21]
	v_fma_f64 v[48:49], v[2:3], s[16:17], -v[44:45]
	v_mul_f64 v[18:19], v[18:19], s[48:49]
	v_fma_f64 v[40:41], v[0:1], s[0:1], -v[36:37]
	v_add_f64 v[48:49], v[48:49], v[56:57]
	v_add_f64 v[212:213], v[40:41], v[48:49]
	v_fma_f64 v[48:49], v[238:239], s[34:35], -v[54:55]
	v_fma_f64 v[54:55], v[254:255], s[4:5], -v[62:63]
	;; [unrolled: 1-line block ×6, first 2 shown]
	v_mul_f64 v[58:59], v[252:253], s[12:13]
	v_fma_f64 v[62:63], v[254:255], s[0:1], v[16:17]
	v_fma_f64 v[16:17], v[254:255], s[0:1], -v[16:17]
	buffer_load_dword v255, off, s[60:63], 0 ; 4-byte Folded Reload
	v_add_f64 v[54:55], v[126:127], v[54:55]
	v_add_f64 v[62:63], v[126:127], v[62:63]
	;; [unrolled: 1-line block ×4, first 2 shown]
	v_mul_f64 v[54:55], v[250:251], s[18:19]
	v_add_f64 v[48:49], v[48:49], v[50:51]
	v_mul_f64 v[50:51], v[248:249], s[24:25]
	v_fma_f64 v[56:57], v[238:239], s[16:17], v[54:55]
	v_add_f64 v[46:47], v[46:47], v[48:49]
	v_fma_f64 v[48:49], v[14:15], s[4:5], v[72:73]
	v_add_f64 v[42:43], v[42:43], v[46:47]
	;; [unrolled: 2-line block ×3, first 2 shown]
	v_add_f64 v[40:41], v[40:41], v[42:43]
	v_fma_f64 v[42:43], v[8:9], s[46:47], v[66:67]
	v_add_f64 v[46:47], v[46:47], v[48:49]
	v_add_f64 v[38:39], v[38:39], v[40:41]
	v_fma_f64 v[40:41], v[6:7], s[38:39], v[60:61]
	v_fma_f64 v[60:61], v[240:241], s[4:5], v[58:59]
	v_add_f64 v[226:227], v[34:35], v[38:39]
	v_fma_f64 v[34:35], v[0:1], s[0:1], v[36:37]
	v_fma_f64 v[36:37], v[2:3], s[16:17], v[44:45]
	;; [unrolled: 1-line block ×3, first 2 shown]
	v_add_f64 v[60:61], v[60:61], v[62:63]
	v_fma_f64 v[62:63], v[14:15], s[0:1], -v[32:33]
	v_fma_f64 v[14:15], v[14:15], s[0:1], v[32:33]
	v_fma_f64 v[38:39], v[4:5], s[26:27], v[52:53]
	;; [unrolled: 1-line block ×3, first 2 shown]
	v_add_f64 v[44:45], v[44:45], v[46:47]
	v_mul_f64 v[46:47], v[246:247], s[30:31]
	v_add_f64 v[56:57], v[56:57], v[60:61]
	v_fma_f64 v[60:61], v[12:13], s[4:5], -v[30:31]
	v_fma_f64 v[12:13], v[12:13], s[4:5], v[30:31]
	v_add_f64 v[14:15], v[124:125], v[14:15]
	v_add_f64 v[62:63], v[124:125], v[62:63]
	;; [unrolled: 1-line block ×3, first 2 shown]
	v_fma_f64 v[48:49], v[234:235], s[26:27], v[46:47]
	v_add_f64 v[52:53], v[52:53], v[56:57]
	v_fma_f64 v[56:57], v[10:11], s[16:17], -v[28:29]
	v_fma_f64 v[10:11], v[10:11], s[16:17], v[28:29]
	v_add_f64 v[12:13], v[12:13], v[14:15]
	v_add_f64 v[60:61], v[60:61], v[62:63]
	;; [unrolled: 1-line block ×3, first 2 shown]
	v_mul_f64 v[42:43], v[242:243], s[36:37]
	v_add_f64 v[48:49], v[48:49], v[52:53]
	v_fma_f64 v[52:53], v[8:9], s[22:23], -v[26:27]
	v_fma_f64 v[8:9], v[8:9], s[22:23], v[26:27]
	v_add_f64 v[10:11], v[10:11], v[12:13]
	v_add_f64 v[56:57], v[56:57], v[60:61]
	;; [unrolled: 1-line block ×3, first 2 shown]
	v_fma_f64 v[44:45], v[232:233], s[34:35], v[42:43]
	v_add_f64 v[8:9], v[8:9], v[10:11]
	v_add_f64 v[52:53], v[52:53], v[56:57]
	v_add_f64 v[36:37], v[36:37], v[38:39]
	v_mul_f64 v[38:39], v[222:223], s[44:45]
	v_add_f64 v[44:45], v[44:45], v[48:49]
	v_fma_f64 v[48:49], v[6:7], s[26:27], -v[24:25]
	v_fma_f64 v[6:7], v[6:7], s[26:27], v[24:25]
	v_add_f64 v[224:225], v[34:35], v[36:37]
	v_mul_f64 v[34:35], v[220:221], s[48:49]
	v_fma_f64 v[40:41], v[230:231], s[38:39], v[38:39]
	v_add_f64 v[48:49], v[48:49], v[52:53]
	v_add_f64 v[6:7], v[6:7], v[8:9]
	v_fma_f64 v[36:37], v[228:229], s[46:47], v[34:35]
	v_add_f64 v[40:41], v[40:41], v[44:45]
	v_fma_f64 v[44:45], v[4:5], s[34:35], -v[22:23]
	v_fma_f64 v[4:5], v[4:5], s[34:35], v[22:23]
	v_fma_f64 v[34:35], v[228:229], s[46:47], -v[34:35]
	v_add_f64 v[222:223], v[36:37], v[40:41]
	v_fma_f64 v[40:41], v[2:3], s[38:39], -v[20:21]
	v_fma_f64 v[2:3], v[2:3], s[38:39], v[20:21]
	v_add_f64 v[4:5], v[4:5], v[6:7]
	v_fma_f64 v[36:37], v[0:1], s[46:47], -v[18:19]
	v_fma_f64 v[0:1], v[0:1], s[46:47], v[18:19]
	v_add_f64 v[44:45], v[44:45], v[48:49]
	v_add_f64 v[2:3], v[2:3], v[4:5]
	;; [unrolled: 1-line block ×3, first 2 shown]
	v_fma_f64 v[44:45], v[238:239], s[16:17], -v[54:55]
	v_add_f64 v[228:229], v[0:1], v[2:3]
	s_clause 0x3
	buffer_load_dword v2, off, s[60:63], 0 offset:1368
	buffer_load_dword v3, off, s[60:63], 0 offset:1372
	;; [unrolled: 1-line block ×4, first 2 shown]
	v_add_f64 v[0:1], v[126:127], v[134:135]
	v_add_f64 v[220:221], v[36:37], v[40:41]
	v_fma_f64 v[40:41], v[234:235], s[26:27], -v[46:47]
	v_fma_f64 v[46:47], v[240:241], s[4:5], -v[58:59]
	;; [unrolled: 1-line block ×5, first 2 shown]
	v_add_f64 v[0:1], v[0:1], v[130:131]
	v_add_f64 v[16:17], v[46:47], v[16:17]
	;; [unrolled: 1-line block ×20, first 2 shown]
	s_waitcnt vmcnt(0)
	v_add_f64 v[0:1], v[0:1], v[4:5]
	v_add_f64 v[74:75], v[0:1], v[78:79]
	v_add_f64 v[0:1], v[124:125], v[132:133]
	v_add_f64 v[0:1], v[0:1], v[128:129]
	v_add_f64 v[0:1], v[0:1], v[120:121]
	v_add_f64 v[0:1], v[0:1], v[116:117]
	v_add_f64 v[0:1], v[0:1], v[112:113]
	v_add_f64 v[0:1], v[0:1], v[108:109]
	v_add_f64 v[0:1], v[0:1], v[104:105]
	v_add_f64 v[0:1], v[0:1], v[100:101]
	v_add_f64 v[0:1], v[0:1], v[96:97]
	v_add_f64 v[0:1], v[0:1], v[92:93]
	v_add_f64 v[0:1], v[0:1], v[88:89]
	v_add_f64 v[0:1], v[0:1], v[84:85]
	v_add_f64 v[0:1], v[0:1], v[80:81]
	v_add_f64 v[0:1], v[0:1], v[156:157]
	v_add_f64 v[0:1], v[0:1], v[2:3]
	v_add_f64 v[72:73], v[0:1], v[76:77]
	buffer_load_dword v0, off, s[60:63], 0 offset:1332 ; 4-byte Folded Reload
	s_waitcnt vmcnt(0)
	v_mul_u32_u24_e32 v0, 17, v0
	v_lshlrev_b32_e32 v0, 4, v0
	ds_write_b128 v0, v[72:75]
	ds_write_b128 v0, v[228:231] offset:16
	ds_write_b128 v0, v[224:227] offset:32
	;; [unrolled: 1-line block ×7, first 2 shown]
	s_clause 0x3
	buffer_load_dword v1, off, s[60:63], 0 offset:1336
	buffer_load_dword v2, off, s[60:63], 0 offset:1340
	buffer_load_dword v3, off, s[60:63], 0 offset:1344
	buffer_load_dword v4, off, s[60:63], 0 offset:1348
	s_waitcnt vmcnt(0)
	ds_write_b128 v0, v[1:4] offset:128
	s_clause 0x3
	buffer_load_dword v1, off, s[60:63], 0 offset:1312
	buffer_load_dword v2, off, s[60:63], 0 offset:1316
	buffer_load_dword v3, off, s[60:63], 0 offset:1320
	buffer_load_dword v4, off, s[60:63], 0 offset:1324
	s_waitcnt vmcnt(0)
	ds_write_b128 v0, v[1:4] offset:144
	;; [unrolled: 7-line block ×3, first 2 shown]
	ds_write_b128 v0, v[148:151] offset:176
	ds_write_b128 v0, v[140:143] offset:192
	;; [unrolled: 1-line block ×6, first 2 shown]
.LBB0_13:
	s_or_b32 exec_lo, exec_lo, s33
	s_waitcnt lgkmcnt(0)
	s_waitcnt_vscnt null, 0x0
	s_barrier
	buffer_gl0_inv
	ds_read_b128 v[0:3], v244 offset:8976
	ds_read_b128 v[72:75], v244 offset:8160
	s_clause 0x3
	buffer_load_dword v6, off, s[60:63], 0 offset:420
	buffer_load_dword v7, off, s[60:63], 0 offset:424
	;; [unrolled: 1-line block ×4, first 2 shown]
	s_mov_b32 s0, 0xe8584caa
	s_mov_b32 s1, 0xbfebb67a
	;; [unrolled: 1-line block ×34, first 2 shown]
	s_waitcnt vmcnt(0) lgkmcnt(1)
	v_mul_f64 v[4:5], v[8:9], v[2:3]
	v_fma_f64 v[40:41], v[6:7], v[0:1], v[4:5]
	v_mul_f64 v[0:1], v[8:9], v[0:1]
	v_fma_f64 v[42:43], v[6:7], v[2:3], -v[0:1]
	ds_read_b128 v[0:3], v244 offset:17952
	ds_read_b128 v[4:7], v244 offset:18768
	s_clause 0x3
	buffer_load_dword v10, off, s[60:63], 0 offset:404
	buffer_load_dword v11, off, s[60:63], 0 offset:408
	buffer_load_dword v12, off, s[60:63], 0 offset:412
	buffer_load_dword v13, off, s[60:63], 0 offset:416
	s_waitcnt vmcnt(0) lgkmcnt(1)
	v_mul_f64 v[8:9], v[12:13], v[2:3]
	v_fma_f64 v[44:45], v[10:11], v[0:1], v[8:9]
	v_mul_f64 v[0:1], v[12:13], v[0:1]
	v_fma_f64 v[46:47], v[10:11], v[2:3], -v[0:1]
	ds_read_b128 v[0:3], v244 offset:9792
	ds_read_b128 v[8:11], v244 offset:10608
	s_clause 0x3
	buffer_load_dword v14, off, s[60:63], 0 offset:468
	buffer_load_dword v15, off, s[60:63], 0 offset:472
	buffer_load_dword v16, off, s[60:63], 0 offset:476
	buffer_load_dword v17, off, s[60:63], 0 offset:480
	s_waitcnt vmcnt(0) lgkmcnt(1)
	v_mul_f64 v[12:13], v[16:17], v[2:3]
	v_fma_f64 v[48:49], v[14:15], v[0:1], v[12:13]
	v_mul_f64 v[0:1], v[16:17], v[0:1]
	v_fma_f64 v[50:51], v[14:15], v[2:3], -v[0:1]
	s_clause 0x3
	buffer_load_dword v12, off, s[60:63], 0 offset:436
	buffer_load_dword v13, off, s[60:63], 0 offset:440
	buffer_load_dword v14, off, s[60:63], 0 offset:444
	buffer_load_dword v15, off, s[60:63], 0 offset:448
	s_waitcnt vmcnt(0)
	v_mul_f64 v[0:1], v[14:15], v[6:7]
	v_fma_f64 v[52:53], v[12:13], v[4:5], v[0:1]
	v_mul_f64 v[0:1], v[14:15], v[4:5]
	s_clause 0x3
	buffer_load_dword v2, off, s[60:63], 0 offset:500
	buffer_load_dword v3, off, s[60:63], 0 offset:504
	buffer_load_dword v4, off, s[60:63], 0 offset:508
	buffer_load_dword v5, off, s[60:63], 0 offset:512
	v_fma_f64 v[54:55], v[12:13], v[6:7], -v[0:1]
	s_waitcnt vmcnt(0) lgkmcnt(0)
	v_mul_f64 v[0:1], v[4:5], v[10:11]
	v_fma_f64 v[56:57], v[2:3], v[8:9], v[0:1]
	v_mul_f64 v[0:1], v[4:5], v[8:9]
	v_fma_f64 v[58:59], v[2:3], v[10:11], -v[0:1]
	ds_read_b128 v[0:3], v244 offset:19584
	ds_read_b128 v[4:7], v244 offset:20400
	s_clause 0x3
	buffer_load_dword v10, off, s[60:63], 0 offset:452
	buffer_load_dword v11, off, s[60:63], 0 offset:456
	buffer_load_dword v12, off, s[60:63], 0 offset:460
	buffer_load_dword v13, off, s[60:63], 0 offset:464
	s_waitcnt vmcnt(0) lgkmcnt(1)
	v_mul_f64 v[8:9], v[12:13], v[2:3]
	v_fma_f64 v[60:61], v[10:11], v[0:1], v[8:9]
	v_mul_f64 v[0:1], v[12:13], v[0:1]
	v_fma_f64 v[62:63], v[10:11], v[2:3], -v[0:1]
	ds_read_b128 v[0:3], v244 offset:11424
	ds_read_b128 v[8:11], v244 offset:12240
	s_clause 0x3
	buffer_load_dword v14, off, s[60:63], 0 offset:532
	buffer_load_dword v15, off, s[60:63], 0 offset:536
	buffer_load_dword v16, off, s[60:63], 0 offset:540
	buffer_load_dword v17, off, s[60:63], 0 offset:544
	s_waitcnt vmcnt(0) lgkmcnt(1)
	v_mul_f64 v[12:13], v[16:17], v[2:3]
	v_fma_f64 v[64:65], v[14:15], v[0:1], v[12:13]
	v_mul_f64 v[0:1], v[16:17], v[0:1]
	v_fma_f64 v[66:67], v[14:15], v[2:3], -v[0:1]
	s_clause 0x3
	buffer_load_dword v12, off, s[60:63], 0 offset:484
	buffer_load_dword v13, off, s[60:63], 0 offset:488
	buffer_load_dword v14, off, s[60:63], 0 offset:492
	buffer_load_dword v15, off, s[60:63], 0 offset:496
	s_waitcnt vmcnt(0)
	v_mul_f64 v[0:1], v[14:15], v[6:7]
	v_fma_f64 v[68:69], v[12:13], v[4:5], v[0:1]
	v_mul_f64 v[0:1], v[14:15], v[4:5]
	s_clause 0x3
	buffer_load_dword v2, off, s[60:63], 0 offset:548
	buffer_load_dword v3, off, s[60:63], 0 offset:552
	buffer_load_dword v4, off, s[60:63], 0 offset:556
	buffer_load_dword v5, off, s[60:63], 0 offset:560
	v_fma_f64 v[70:71], v[12:13], v[6:7], -v[0:1]
	;; [unrolled: 44-line block ×4, first 2 shown]
	s_waitcnt vmcnt(0) lgkmcnt(0)
	v_mul_f64 v[0:1], v[4:5], v[10:11]
	v_fma_f64 v[16:17], v[2:3], v[8:9], v[0:1]
	v_mul_f64 v[0:1], v[4:5], v[8:9]
	v_fma_f64 v[18:19], v[2:3], v[10:11], -v[0:1]
	ds_read_b128 v[0:3], v244 offset:24480
	ds_read_b128 v[4:7], v244 offset:25296
	s_clause 0x3
	buffer_load_dword v10, off, s[60:63], 0 offset:660
	buffer_load_dword v11, off, s[60:63], 0 offset:664
	;; [unrolled: 1-line block ×4, first 2 shown]
	s_waitcnt vmcnt(0) lgkmcnt(1)
	v_mul_f64 v[8:9], v[12:13], v[2:3]
	v_fma_f64 v[20:21], v[10:11], v[0:1], v[8:9]
	v_mul_f64 v[0:1], v[12:13], v[0:1]
	v_fma_f64 v[22:23], v[10:11], v[2:3], -v[0:1]
	ds_read_b128 v[0:3], v244 offset:16320
	ds_read_b128 v[36:39], v244 offset:17136
	s_clause 0x7
	buffer_load_dword v10, off, s[60:63], 0 offset:712
	buffer_load_dword v11, off, s[60:63], 0 offset:716
	;; [unrolled: 1-line block ×8, first 2 shown]
	s_waitcnt vmcnt(4) lgkmcnt(1)
	v_mul_f64 v[8:9], v[12:13], v[2:3]
	v_fma_f64 v[8:9], v[10:11], v[0:1], v[8:9]
	v_mul_f64 v[0:1], v[12:13], v[0:1]
	v_fma_f64 v[10:11], v[10:11], v[2:3], -v[0:1]
	s_waitcnt vmcnt(0)
	v_mul_f64 v[0:1], v[78:79], v[6:7]
	v_fma_f64 v[12:13], v[76:77], v[4:5], v[0:1]
	v_mul_f64 v[0:1], v[78:79], v[4:5]
	v_fma_f64 v[14:15], v[76:77], v[6:7], -v[0:1]
	s_clause 0x3
	buffer_load_dword v4, off, s[60:63], 0 offset:744
	buffer_load_dword v5, off, s[60:63], 0 offset:748
	;; [unrolled: 1-line block ×4, first 2 shown]
	s_waitcnt vmcnt(0) lgkmcnt(0)
	v_mul_f64 v[0:1], v[6:7], v[38:39]
	v_mul_f64 v[2:3], v[6:7], v[36:37]
	v_fma_f64 v[0:1], v[4:5], v[36:37], v[0:1]
	v_fma_f64 v[2:3], v[4:5], v[38:39], -v[2:3]
	ds_read_b128 v[36:39], v244 offset:26112
	s_clause 0x3
	buffer_load_dword v76, off, s[60:63], 0 offset:728
	buffer_load_dword v77, off, s[60:63], 0 offset:732
	;; [unrolled: 1-line block ×4, first 2 shown]
	s_waitcnt vmcnt(0) lgkmcnt(0)
	v_mul_f64 v[4:5], v[78:79], v[38:39]
	v_mul_f64 v[6:7], v[78:79], v[36:37]
	v_add_f64 v[78:79], v[42:43], v[46:47]
	v_fma_f64 v[4:5], v[76:77], v[36:37], v[4:5]
	v_fma_f64 v[6:7], v[76:77], v[38:39], -v[6:7]
	v_add_f64 v[76:77], v[40:41], v[44:45]
	ds_read_b128 v[36:39], v244
	ds_read_b128 v[94:97], v244 offset:816
	s_waitcnt lgkmcnt(1)
	v_fma_f64 v[78:79], v[78:79], -0.5, v[38:39]
	v_add_f64 v[38:39], v[38:39], v[42:43]
	v_fma_f64 v[76:77], v[76:77], -0.5, v[36:37]
	v_add_f64 v[36:37], v[36:37], v[40:41]
	v_add_f64 v[42:43], v[42:43], -v[46:47]
	v_add_f64 v[40:41], v[40:41], -v[44:45]
	v_add_f64 v[38:39], v[38:39], v[46:47]
	v_add_f64 v[46:47], v[50:51], -v[54:55]
	v_add_f64 v[36:37], v[36:37], v[44:45]
	v_fma_f64 v[98:99], v[42:43], s[0:1], v[76:77]
	v_fma_f64 v[102:103], v[42:43], s[2:3], v[76:77]
	;; [unrolled: 1-line block ×4, first 2 shown]
	ds_read_b128 v[106:109], v244 offset:1632
	ds_read_b128 v[110:113], v244 offset:2448
	ds_read_b128 v[114:117], v244 offset:3264
	ds_read_b128 v[118:121], v244 offset:4080
	ds_read_b128 v[122:125], v244 offset:4896
	ds_read_b128 v[126:129], v244 offset:5712
	ds_read_b128 v[130:133], v244 offset:6528
	ds_read_b128 v[76:79], v244 offset:7344
	s_waitcnt lgkmcnt(0)
	s_barrier
	buffer_gl0_inv
	buffer_load_dword v40, off, s[60:63], 0 offset:708 ; 4-byte Folded Reload
	v_add_f64 v[44:45], v[94:95], v[48:49]
	s_waitcnt vmcnt(0)
	ds_write_b128 v40, v[36:39]
	ds_write_b128 v40, v[98:101] offset:272
	ds_write_b128 v40, v[102:105] offset:544
	v_add_f64 v[36:37], v[48:49], v[52:53]
	v_fma_f64 v[40:41], v[36:37], -0.5, v[94:95]
	v_add_f64 v[36:37], v[50:51], v[54:55]
	v_fma_f64 v[94:95], v[46:47], s[0:1], v[40:41]
	v_fma_f64 v[98:99], v[46:47], s[2:3], v[40:41]
	buffer_load_dword v40, off, s[60:63], 0 offset:796 ; 4-byte Folded Reload
	v_fma_f64 v[42:43], v[36:37], -0.5, v[96:97]
	v_add_f64 v[36:37], v[96:97], v[50:51]
	v_add_f64 v[46:47], v[58:59], -v[62:63]
	v_add_f64 v[38:39], v[36:37], v[54:55]
	v_add_f64 v[36:37], v[44:45], v[52:53]
	v_add_f64 v[44:45], v[48:49], -v[52:53]
	v_fma_f64 v[96:97], v[44:45], s[2:3], v[42:43]
	v_fma_f64 v[100:101], v[44:45], s[0:1], v[42:43]
	v_add_f64 v[44:45], v[106:107], v[56:57]
	s_waitcnt vmcnt(0)
	ds_write_b128 v40, v[36:39]
	ds_write_b128 v40, v[94:97] offset:272
	ds_write_b128 v40, v[98:101] offset:544
	v_add_f64 v[36:37], v[56:57], v[60:61]
	v_fma_f64 v[40:41], v[36:37], -0.5, v[106:107]
	v_add_f64 v[36:37], v[58:59], v[62:63]
	v_fma_f64 v[94:95], v[46:47], s[0:1], v[40:41]
	v_fma_f64 v[98:99], v[46:47], s[2:3], v[40:41]
	buffer_load_dword v40, off, s[60:63], 0 offset:792 ; 4-byte Folded Reload
	v_fma_f64 v[42:43], v[36:37], -0.5, v[108:109]
	v_add_f64 v[36:37], v[108:109], v[58:59]
	v_add_f64 v[46:47], v[66:67], -v[70:71]
	v_add_f64 v[38:39], v[36:37], v[62:63]
	v_add_f64 v[36:37], v[44:45], v[60:61]
	v_add_f64 v[44:45], v[56:57], -v[60:61]
	v_fma_f64 v[96:97], v[44:45], s[2:3], v[42:43]
	v_fma_f64 v[100:101], v[44:45], s[0:1], v[42:43]
	;; [unrolled: 19-line block ×3, first 2 shown]
	v_add_f64 v[44:45], v[114:115], v[92:93]
	s_waitcnt vmcnt(0)
	ds_write_b128 v40, v[36:39]
	ds_write_b128 v40, v[94:97] offset:272
	ds_write_b128 v40, v[98:101] offset:544
	v_add_f64 v[36:37], v[92:93], v[136:137]
	v_fma_f64 v[40:41], v[36:37], -0.5, v[114:115]
	v_add_f64 v[36:37], v[134:135], v[138:139]
	v_fma_f64 v[96:97], v[46:47], s[2:3], v[40:41]
	v_fma_f64 v[42:43], v[36:37], -0.5, v[116:117]
	v_add_f64 v[36:37], v[116:117], v[134:135]
	v_add_f64 v[38:39], v[36:37], v[138:139]
	;; [unrolled: 1-line block ×3, first 2 shown]
	v_add_f64 v[44:45], v[92:93], -v[136:137]
	v_fma_f64 v[92:93], v[46:47], s[0:1], v[40:41]
	buffer_load_dword v40, off, s[60:63], 0 offset:780 ; 4-byte Folded Reload
	v_add_f64 v[46:47], v[86:87], -v[90:91]
	v_fma_f64 v[94:95], v[44:45], s[2:3], v[42:43]
	v_fma_f64 v[98:99], v[44:45], s[0:1], v[42:43]
	v_add_f64 v[44:45], v[118:119], v[84:85]
	s_waitcnt vmcnt(0)
	ds_write_b128 v40, v[36:39]
	ds_write_b128 v40, v[92:95] offset:272
	ds_write_b128 v40, v[96:99] offset:544
	v_add_f64 v[36:37], v[84:85], v[88:89]
	v_fma_f64 v[40:41], v[36:37], -0.5, v[118:119]
	v_add_f64 v[36:37], v[86:87], v[90:91]
	v_fma_f64 v[42:43], v[36:37], -0.5, v[120:121]
	v_add_f64 v[36:37], v[120:121], v[86:87]
	v_add_f64 v[38:39], v[36:37], v[90:91]
	;; [unrolled: 1-line block ×3, first 2 shown]
	v_add_f64 v[44:45], v[84:85], -v[88:89]
	v_fma_f64 v[84:85], v[46:47], s[0:1], v[40:41]
	v_fma_f64 v[88:89], v[46:47], s[2:3], v[40:41]
	buffer_load_dword v40, off, s[60:63], 0 offset:776 ; 4-byte Folded Reload
	v_fma_f64 v[86:87], v[44:45], s[2:3], v[42:43]
	v_fma_f64 v[90:91], v[44:45], s[0:1], v[42:43]
	v_add_f64 v[42:43], v[122:123], v[32:33]
	v_add_f64 v[44:45], v[34:35], -v[82:83]
	s_waitcnt vmcnt(0)
	ds_write_b128 v40, v[36:39]
	ds_write_b128 v40, v[84:87] offset:272
	ds_write_b128 v40, v[88:91] offset:544
	v_add_f64 v[36:37], v[32:33], v[80:81]
	v_add_f64 v[32:33], v[32:33], -v[80:81]
	v_fma_f64 v[38:39], v[36:37], -0.5, v[122:123]
	v_add_f64 v[36:37], v[34:35], v[82:83]
	v_fma_f64 v[84:85], v[44:45], s[2:3], v[38:39]
	v_fma_f64 v[40:41], v[36:37], -0.5, v[124:125]
	v_add_f64 v[36:37], v[124:125], v[34:35]
	v_add_f64 v[34:35], v[42:43], v[80:81]
	v_fma_f64 v[80:81], v[44:45], s[0:1], v[38:39]
	v_add_f64 v[38:39], v[126:127], v[24:25]
	v_fma_f64 v[86:87], v[32:33], s[0:1], v[40:41]
	;; [unrolled: 2-line block ×3, first 2 shown]
	buffer_load_dword v32, off, s[60:63], 0 offset:772 ; 4-byte Folded Reload
	s_waitcnt vmcnt(0)
	ds_write_b128 v32, v[34:37]
	ds_write_b128 v32, v[80:83] offset:272
	ds_write_b128 v32, v[84:87] offset:544
	v_add_f64 v[32:33], v[24:25], v[28:29]
	v_fma_f64 v[34:35], v[32:33], -0.5, v[126:127]
	v_add_f64 v[32:33], v[26:27], v[30:31]
	v_fma_f64 v[36:37], v[32:33], -0.5, v[128:129]
	v_add_f64 v[32:33], v[128:129], v[26:27]
	v_add_f64 v[26:27], v[26:27], -v[30:31]
	v_add_f64 v[32:33], v[32:33], v[30:31]
	v_add_f64 v[30:31], v[38:39], v[28:29]
	v_add_f64 v[28:29], v[24:25], -v[28:29]
	v_fma_f64 v[24:25], v[26:27], s[0:1], v[34:35]
	v_fma_f64 v[34:35], v[26:27], s[2:3], v[34:35]
	v_fma_f64 v[26:27], v[28:29], s[2:3], v[36:37]
	v_fma_f64 v[36:37], v[28:29], s[0:1], v[36:37]
	buffer_load_dword v28, off, s[60:63], 0 offset:768 ; 4-byte Folded Reload
	s_waitcnt vmcnt(0)
	ds_write_b128 v28, v[30:33]
	ds_write_b128 v28, v[24:27] offset:272
	ds_write_b128 v28, v[34:37] offset:544
	v_add_f64 v[24:25], v[16:17], v[20:21]
	v_add_f64 v[30:31], v[130:131], v[16:17]
	v_fma_f64 v[26:27], v[24:25], -0.5, v[130:131]
	v_add_f64 v[24:25], v[18:19], v[22:23]
	v_fma_f64 v[28:29], v[24:25], -0.5, v[132:133]
	v_add_f64 v[24:25], v[132:133], v[18:19]
	v_add_f64 v[18:19], v[18:19], -v[22:23]
	v_add_f64 v[24:25], v[24:25], v[22:23]
	v_add_f64 v[22:23], v[30:31], v[20:21]
	v_add_f64 v[20:21], v[16:17], -v[20:21]
	v_fma_f64 v[16:17], v[18:19], s[0:1], v[26:27]
	v_fma_f64 v[26:27], v[18:19], s[2:3], v[26:27]
	v_fma_f64 v[18:19], v[20:21], s[2:3], v[28:29]
	v_fma_f64 v[28:29], v[20:21], s[0:1], v[28:29]
	buffer_load_dword v20, off, s[60:63], 0 offset:764 ; 4-byte Folded Reload
	s_waitcnt vmcnt(0)
	ds_write_b128 v20, v[22:25]
	ds_write_b128 v20, v[16:19] offset:272
	ds_write_b128 v20, v[26:29] offset:544
	v_add_f64 v[16:17], v[8:9], v[12:13]
	;; [unrolled: 19-line block ×3, first 2 shown]
	v_add_f64 v[14:15], v[72:73], v[0:1]
	v_fma_f64 v[10:11], v[8:9], -0.5, v[72:73]
	v_add_f64 v[8:9], v[2:3], v[6:7]
	v_fma_f64 v[12:13], v[8:9], -0.5, v[74:75]
	v_add_f64 v[8:9], v[74:75], v[2:3]
	v_add_f64 v[2:3], v[2:3], -v[6:7]
	v_add_f64 v[8:9], v[8:9], v[6:7]
	v_add_f64 v[6:7], v[14:15], v[4:5]
	v_add_f64 v[4:5], v[0:1], -v[4:5]
	v_fma_f64 v[0:1], v[2:3], s[0:1], v[10:11]
	v_fma_f64 v[10:11], v[2:3], s[2:3], v[10:11]
	;; [unrolled: 1-line block ×4, first 2 shown]
	buffer_load_dword v4, off, s[60:63], 0 offset:788 ; 4-byte Folded Reload
	s_waitcnt vmcnt(0)
	ds_write_b128 v4, v[6:9]
	ds_write_b128 v4, v[0:3] offset:272
	ds_write_b128 v4, v[10:13] offset:544
	s_waitcnt lgkmcnt(0)
	s_barrier
	buffer_gl0_inv
	ds_read_b128 v[0:3], v244 offset:2448
	ds_read_b128 v[72:75], v244 offset:1632
	s_waitcnt lgkmcnt(1)
	v_mul_f64 v[4:5], v[186:187], v[2:3]
	v_fma_f64 v[40:41], v[184:185], v[0:1], v[4:5]
	v_mul_f64 v[0:1], v[186:187], v[0:1]
	v_fma_f64 v[42:43], v[184:185], v[2:3], -v[0:1]
	ds_read_b128 v[0:3], v244 offset:3264
	ds_read_b128 v[4:7], v244 offset:4080
	s_waitcnt lgkmcnt(1)
	v_mul_f64 v[8:9], v[186:187], v[2:3]
	v_fma_f64 v[156:157], v[184:185], v[0:1], v[8:9]
	v_mul_f64 v[0:1], v[186:187], v[0:1]
	v_fma_f64 v[158:159], v[184:185], v[2:3], -v[0:1]
	;; [unrolled: 7-line block ×3, first 2 shown]
	s_waitcnt lgkmcnt(0)
	v_mul_f64 v[0:1], v[170:171], v[10:11]
	v_fma_f64 v[148:149], v[168:169], v[8:9], v[0:1]
	v_mul_f64 v[0:1], v[170:171], v[8:9]
	v_fma_f64 v[150:151], v[168:169], v[10:11], -v[0:1]
	ds_read_b128 v[0:3], v244 offset:7344
	ds_read_b128 v[8:11], v244 offset:6528
	s_waitcnt lgkmcnt(1)
	v_mul_f64 v[12:13], v[166:167], v[2:3]
	v_fma_f64 v[48:49], v[164:165], v[0:1], v[12:13]
	v_mul_f64 v[0:1], v[166:167], v[0:1]
	v_fma_f64 v[50:51], v[164:165], v[2:3], -v[0:1]
	ds_read_b128 v[0:3], v244 offset:8160
	ds_read_b128 v[12:15], v244 offset:8976
	s_waitcnt lgkmcnt(1)
	v_mul_f64 v[16:17], v[166:167], v[2:3]
	v_fma_f64 v[144:145], v[164:165], v[0:1], v[16:17]
	v_mul_f64 v[0:1], v[166:167], v[0:1]
	v_fma_f64 v[146:147], v[164:165], v[2:3], -v[0:1]
	ds_read_b128 v[0:3], v244 offset:9792
	ds_read_b128 v[16:19], v244 offset:10608
	s_waitcnt lgkmcnt(1)
	v_mul_f64 v[20:21], v[162:163], v[2:3]
	v_fma_f64 v[52:53], v[160:161], v[0:1], v[20:21]
	v_mul_f64 v[0:1], v[162:163], v[0:1]
	v_fma_f64 v[54:55], v[160:161], v[2:3], -v[0:1]
	s_waitcnt lgkmcnt(0)
	v_mul_f64 v[0:1], v[162:163], v[18:19]
	v_fma_f64 v[136:137], v[160:161], v[16:17], v[0:1]
	v_mul_f64 v[0:1], v[162:163], v[16:17]
	v_fma_f64 v[138:139], v[160:161], v[18:19], -v[0:1]
	ds_read_b128 v[0:3], v244 offset:12240
	ds_read_b128 v[20:23], v244 offset:11424
	s_waitcnt lgkmcnt(1)
	v_mul_f64 v[16:17], v[194:195], v[2:3]
	v_fma_f64 v[56:57], v[192:193], v[0:1], v[16:17]
	v_mul_f64 v[0:1], v[194:195], v[0:1]
	v_fma_f64 v[58:59], v[192:193], v[2:3], -v[0:1]
	ds_read_b128 v[0:3], v244 offset:13056
	ds_read_b128 v[28:31], v244 offset:13872
	;; [unrolled: 7-line block ×3, first 2 shown]
	s_waitcnt lgkmcnt(1)
	v_mul_f64 v[24:25], v[182:183], v[2:3]
	v_fma_f64 v[60:61], v[180:181], v[0:1], v[24:25]
	v_mul_f64 v[0:1], v[182:183], v[0:1]
	v_fma_f64 v[62:63], v[180:181], v[2:3], -v[0:1]
	s_waitcnt lgkmcnt(0)
	v_mul_f64 v[0:1], v[182:183], v[18:19]
	v_add_f64 v[186:187], v[58:59], -v[62:63]
	v_fma_f64 v[132:133], v[180:181], v[16:17], v[0:1]
	v_mul_f64 v[0:1], v[182:183], v[16:17]
	v_add_f64 v[192:193], v[128:129], v[132:133]
	v_fma_f64 v[134:135], v[180:181], v[18:19], -v[0:1]
	ds_read_b128 v[0:3], v244 offset:17136
	ds_read_b128 v[36:39], v244 offset:16320
	v_add_f64 v[194:195], v[128:129], -v[132:133]
	s_waitcnt lgkmcnt(1)
	v_mul_f64 v[16:17], v[178:179], v[2:3]
	v_fma_f64 v[64:65], v[176:177], v[0:1], v[16:17]
	v_mul_f64 v[0:1], v[178:179], v[0:1]
	v_fma_f64 v[66:67], v[176:177], v[2:3], -v[0:1]
	ds_read_b128 v[0:3], v244 offset:17952
	ds_read_b128 v[76:79], v244 offset:18768
	s_waitcnt lgkmcnt(1)
	v_mul_f64 v[16:17], v[178:179], v[2:3]
	v_add_f64 v[184:185], v[54:55], -v[66:67]
	v_fma_f64 v[140:141], v[176:177], v[0:1], v[16:17]
	v_mul_f64 v[0:1], v[178:179], v[0:1]
	v_fma_f64 v[142:143], v[176:177], v[2:3], -v[0:1]
	ds_read_b128 v[0:3], v244 offset:19584
	ds_read_b128 v[16:19], v244 offset:20400
	s_waitcnt lgkmcnt(1)
	v_mul_f64 v[24:25], v[174:175], v[2:3]
	v_fma_f64 v[68:69], v[172:173], v[0:1], v[24:25]
	v_mul_f64 v[0:1], v[174:175], v[0:1]
	v_fma_f64 v[70:71], v[172:173], v[2:3], -v[0:1]
	s_waitcnt lgkmcnt(0)
	v_mul_f64 v[0:1], v[174:175], v[18:19]
	v_add_f64 v[182:183], v[50:51], -v[70:71]
	v_fma_f64 v[152:153], v[172:173], v[16:17], v[0:1]
	v_mul_f64 v[0:1], v[174:175], v[16:17]
	v_fma_f64 v[154:155], v[172:173], v[18:19], -v[0:1]
	ds_read_b128 v[0:3], v244 offset:22032
	ds_read_b128 v[80:83], v244 offset:21216
	s_waitcnt lgkmcnt(1)
	v_mul_f64 v[16:17], v[198:199], v[2:3]
	v_fma_f64 v[88:89], v[196:197], v[0:1], v[16:17]
	v_mul_f64 v[0:1], v[198:199], v[0:1]
	v_add_f64 v[180:181], v[44:45], v[88:89]
	v_fma_f64 v[90:91], v[196:197], v[2:3], -v[0:1]
	ds_read_b128 v[0:3], v244 offset:22848
	ds_read_b128 v[84:87], v244 offset:23664
	s_waitcnt lgkmcnt(1)
	v_mul_f64 v[16:17], v[198:199], v[2:3]
	v_fma_f64 v[160:161], v[196:197], v[0:1], v[16:17]
	v_mul_f64 v[0:1], v[198:199], v[0:1]
	v_fma_f64 v[162:163], v[196:197], v[2:3], -v[0:1]
	ds_read_b128 v[0:3], v244 offset:24480
	ds_read_b128 v[16:19], v244 offset:25296
	s_waitcnt lgkmcnt(1)
	v_mul_f64 v[24:25], v[190:191], v[2:3]
	v_fma_f64 v[92:93], v[188:189], v[0:1], v[24:25]
	v_mul_f64 v[0:1], v[190:191], v[0:1]
	v_fma_f64 v[94:95], v[188:189], v[2:3], -v[0:1]
	s_waitcnt lgkmcnt(0)
	v_mul_f64 v[0:1], v[190:191], v[18:19]
	v_fma_f64 v[164:165], v[188:189], v[16:17], v[0:1]
	v_mul_f64 v[0:1], v[190:191], v[16:17]
	v_add_f64 v[190:191], v[130:131], v[134:135]
	v_fma_f64 v[166:167], v[188:189], v[18:19], -v[0:1]
	s_clause 0x3
	buffer_load_dword v16, off, s[60:63], 0 offset:848
	buffer_load_dword v17, off, s[60:63], 0 offset:852
	;; [unrolled: 1-line block ×4, first 2 shown]
	v_add_f64 v[188:189], v[130:131], -v[134:135]
	s_waitcnt vmcnt(0)
	v_mul_f64 v[0:1], v[18:19], v[6:7]
	v_fma_f64 v[32:33], v[16:17], v[4:5], v[0:1]
	v_mul_f64 v[0:1], v[18:19], v[4:5]
	s_clause 0x3
	buffer_load_dword v2, off, s[60:63], 0 offset:832
	buffer_load_dword v3, off, s[60:63], 0 offset:836
	;; [unrolled: 1-line block ×4, first 2 shown]
	v_fma_f64 v[34:35], v[16:17], v[6:7], -v[0:1]
	s_waitcnt vmcnt(0)
	v_mul_f64 v[0:1], v[4:5], v[10:11]
	v_fma_f64 v[24:25], v[2:3], v[8:9], v[0:1]
	v_mul_f64 v[0:1], v[4:5], v[8:9]
	v_fma_f64 v[26:27], v[2:3], v[10:11], -v[0:1]
	s_clause 0x3
	buffer_load_dword v2, off, s[60:63], 0 offset:816
	buffer_load_dword v3, off, s[60:63], 0 offset:820
	;; [unrolled: 1-line block ×4, first 2 shown]
	s_waitcnt vmcnt(0)
	v_mul_f64 v[0:1], v[4:5], v[14:15]
	v_fma_f64 v[16:17], v[2:3], v[12:13], v[0:1]
	v_mul_f64 v[0:1], v[4:5], v[12:13]
	v_fma_f64 v[18:19], v[2:3], v[14:15], -v[0:1]
	s_clause 0x3
	buffer_load_dword v2, off, s[60:63], 0 offset:800
	buffer_load_dword v3, off, s[60:63], 0 offset:804
	;; [unrolled: 1-line block ×4, first 2 shown]
	s_waitcnt vmcnt(0)
	v_mul_f64 v[0:1], v[4:5], v[22:23]
	v_fma_f64 v[8:9], v[2:3], v[20:21], v[0:1]
	v_mul_f64 v[0:1], v[4:5], v[20:21]
	s_clause 0x7
	buffer_load_dword v4, off, s[60:63], 0 offset:912
	buffer_load_dword v5, off, s[60:63], 0 offset:916
	;; [unrolled: 1-line block ×8, first 2 shown]
	v_fma_f64 v[10:11], v[2:3], v[22:23], -v[0:1]
	s_clause 0x3
	buffer_load_dword v20, off, s[60:63], 0 offset:880
	buffer_load_dword v21, off, s[60:63], 0 offset:884
	;; [unrolled: 1-line block ×4, first 2 shown]
	s_waitcnt vmcnt(8)
	v_mul_f64 v[0:1], v[6:7], v[30:31]
	v_mul_f64 v[2:3], v[6:7], v[28:29]
	s_waitcnt vmcnt(4)
	v_mul_f64 v[6:7], v[14:15], v[36:37]
	v_fma_f64 v[0:1], v[4:5], v[28:29], v[0:1]
	v_fma_f64 v[2:3], v[4:5], v[30:31], -v[2:3]
	v_mul_f64 v[4:5], v[14:15], v[38:39]
	s_clause 0x3
	buffer_load_dword v28, off, s[60:63], 0 offset:864
	buffer_load_dword v29, off, s[60:63], 0 offset:868
	;; [unrolled: 1-line block ×4, first 2 shown]
	v_fma_f64 v[6:7], v[12:13], v[38:39], -v[6:7]
	s_waitcnt vmcnt(4)
	v_mul_f64 v[14:15], v[22:23], v[76:77]
	v_fma_f64 v[4:5], v[12:13], v[36:37], v[4:5]
	s_clause 0x3
	buffer_load_dword v36, off, s[60:63], 0 offset:944
	buffer_load_dword v37, off, s[60:63], 0 offset:948
	;; [unrolled: 1-line block ×4, first 2 shown]
	v_mul_f64 v[12:13], v[22:23], v[78:79]
	v_fma_f64 v[14:15], v[20:21], v[78:79], -v[14:15]
	v_fma_f64 v[12:13], v[20:21], v[76:77], v[12:13]
	s_waitcnt vmcnt(4)
	v_mul_f64 v[20:21], v[30:31], v[82:83]
	v_mul_f64 v[22:23], v[30:31], v[80:81]
	v_fma_f64 v[20:21], v[28:29], v[80:81], v[20:21]
	v_fma_f64 v[22:23], v[28:29], v[82:83], -v[22:23]
	s_waitcnt vmcnt(0)
	v_mul_f64 v[28:29], v[38:39], v[86:87]
	v_mul_f64 v[30:31], v[38:39], v[84:85]
	v_add_f64 v[82:83], v[40:41], v[92:93]
	v_fma_f64 v[28:29], v[36:37], v[84:85], v[28:29]
	v_fma_f64 v[30:31], v[36:37], v[86:87], -v[30:31]
	ds_read_b128 v[36:39], v244 offset:26112
	s_clause 0x3
	buffer_load_dword v78, off, s[60:63], 0 offset:928
	buffer_load_dword v79, off, s[60:63], 0 offset:932
	;; [unrolled: 1-line block ×4, first 2 shown]
	s_waitcnt vmcnt(0) lgkmcnt(0)
	v_mul_f64 v[76:77], v[80:81], v[38:39]
	v_fma_f64 v[168:169], v[78:79], v[36:37], v[76:77]
	v_mul_f64 v[36:37], v[80:81], v[36:37]
	v_add_f64 v[80:81], v[42:43], -v[94:95]
	v_fma_f64 v[170:171], v[78:79], v[38:39], -v[36:37]
	ds_read_b128 v[36:39], v244
	ds_read_b128 v[124:127], v244 offset:816
	v_mul_f64 v[84:85], v[80:81], s[4:5]
	v_mul_f64 v[86:87], v[80:81], s[16:17]
	s_waitcnt lgkmcnt(0)
	s_barrier
	buffer_gl0_inv
	v_add_f64 v[76:77], v[36:37], v[40:41]
	v_add_f64 v[78:79], v[38:39], v[42:43]
	;; [unrolled: 1-line block ×3, first 2 shown]
	v_add_f64 v[40:41], v[40:41], -v[92:93]
	v_fma_f64 v[96:97], v[82:83], s[24:25], v[84:85]
	v_fma_f64 v[84:85], v[82:83], s[24:25], -v[84:85]
	v_fma_f64 v[98:99], v[82:83], s[22:23], v[86:87]
	v_fma_f64 v[86:87], v[82:83], s[22:23], -v[86:87]
	v_add_f64 v[76:77], v[76:77], v[44:45]
	v_add_f64 v[78:79], v[78:79], v[46:47]
	v_mul_f64 v[106:107], v[42:43], s[22:23]
	v_mul_f64 v[108:109], v[42:43], s[20:21]
	v_mul_f64 v[110:111], v[42:43], s[26:27]
	v_add_f64 v[44:45], v[44:45], -v[88:89]
	v_add_f64 v[98:99], v[36:37], v[98:99]
	v_add_f64 v[122:123], v[36:37], v[86:87]
	;; [unrolled: 1-line block ×4, first 2 shown]
	v_fma_f64 v[114:115], v[40:41], s[28:29], v[106:107]
	v_fma_f64 v[106:107], v[40:41], s[16:17], v[106:107]
	;; [unrolled: 1-line block ×6, first 2 shown]
	v_add_f64 v[50:51], v[50:51], v[70:71]
	v_add_f64 v[76:77], v[76:77], v[52:53]
	;; [unrolled: 1-line block ×16, first 2 shown]
	v_add_f64 v[56:57], v[56:57], -v[60:61]
	v_mul_f64 v[60:61], v[186:187], s[34:35]
	v_add_f64 v[76:77], v[76:77], v[64:65]
	v_add_f64 v[78:79], v[78:79], v[66:67]
	;; [unrolled: 1-line block ×3, first 2 shown]
	v_add_f64 v[52:53], v[52:53], -v[64:65]
	v_mul_f64 v[64:65], v[184:185], s[18:19]
	v_add_f64 v[76:77], v[76:77], v[68:69]
	v_add_f64 v[78:79], v[78:79], v[70:71]
	;; [unrolled: 1-line block ×3, first 2 shown]
	v_add_f64 v[48:49], v[48:49], -v[68:69]
	v_mul_f64 v[68:69], v[182:183], s[12:13]
	v_add_f64 v[76:77], v[76:77], v[88:89]
	v_add_f64 v[78:79], v[78:79], v[90:91]
	v_fma_f64 v[86:87], v[70:71], s[20:21], v[68:69]
	v_fma_f64 v[68:69], v[70:71], s[20:21], -v[68:69]
	v_add_f64 v[76:77], v[76:77], v[92:93]
	v_add_f64 v[78:79], v[78:79], v[94:95]
	v_mul_f64 v[92:93], v[80:81], s[12:13]
	v_mul_f64 v[94:95], v[80:81], s[18:19]
	;; [unrolled: 1-line block ×3, first 2 shown]
	v_fma_f64 v[100:101], v[82:83], s[20:21], v[92:93]
	v_fma_f64 v[92:93], v[82:83], s[20:21], -v[92:93]
	v_fma_f64 v[102:103], v[82:83], s[26:27], v[94:95]
	v_fma_f64 v[94:95], v[82:83], s[26:27], -v[94:95]
	v_fma_f64 v[104:105], v[82:83], s[38:39], v[80:81]
	v_fma_f64 v[80:81], v[82:83], s[38:39], -v[80:81]
	v_mul_f64 v[82:83], v[42:43], s[24:25]
	v_mul_f64 v[42:43], v[42:43], s[38:39]
	v_add_f64 v[100:101], v[36:37], v[100:101]
	v_add_f64 v[172:173], v[36:37], v[92:93]
	v_add_f64 v[174:175], v[36:37], v[102:103]
	v_add_f64 v[176:177], v[36:37], v[94:95]
	v_add_f64 v[178:179], v[36:37], v[104:105]
	v_mul_f64 v[92:93], v[54:55], s[26:27]
	v_fma_f64 v[112:113], v[40:41], s[30:31], v[82:83]
	v_fma_f64 v[82:83], v[40:41], s[4:5], v[82:83]
	;; [unrolled: 1-line block ×4, first 2 shown]
	v_add_f64 v[42:43], v[36:37], v[96:97]
	v_mul_f64 v[102:103], v[186:187], s[30:31]
	v_mul_f64 v[104:105], v[184:185], s[4:5]
	v_add_f64 v[96:97], v[38:39], v[112:113]
	v_add_f64 v[82:83], v[38:39], v[82:83]
	;; [unrolled: 1-line block ×4, first 2 shown]
	v_add_f64 v[40:41], v[46:47], -v[90:91]
	v_add_f64 v[112:113], v[36:37], v[84:85]
	v_add_f64 v[36:37], v[36:37], v[80:81]
	;; [unrolled: 1-line block ×3, first 2 shown]
	v_mul_f64 v[90:91], v[50:51], s[20:21]
	v_mul_f64 v[80:81], v[40:41], s[16:17]
	;; [unrolled: 1-line block ×3, first 2 shown]
	v_fma_f64 v[84:85], v[180:181], s[22:23], v[80:81]
	v_fma_f64 v[80:81], v[180:181], s[22:23], -v[80:81]
	v_add_f64 v[42:43], v[84:85], v[42:43]
	v_fma_f64 v[84:85], v[44:45], s[28:29], v[88:89]
	v_add_f64 v[80:81], v[80:81], v[112:113]
	v_fma_f64 v[88:89], v[44:45], s[16:17], v[88:89]
	v_mul_f64 v[112:113], v[186:187], s[18:19]
	v_add_f64 v[42:43], v[86:87], v[42:43]
	v_add_f64 v[84:85], v[84:85], v[96:97]
	v_fma_f64 v[86:87], v[48:49], s[36:37], v[90:91]
	v_add_f64 v[82:83], v[88:89], v[82:83]
	v_add_f64 v[68:69], v[68:69], v[80:81]
	v_fma_f64 v[80:81], v[48:49], s[12:13], v[90:91]
	v_mul_f64 v[88:89], v[182:183], s[42:43]
	v_mul_f64 v[96:97], v[184:185], s[36:37]
	v_add_f64 v[84:85], v[86:87], v[84:85]
	v_fma_f64 v[86:87], v[66:67], s[26:27], v[64:65]
	v_fma_f64 v[64:65], v[66:67], s[26:27], -v[64:65]
	v_add_f64 v[80:81], v[80:81], v[82:83]
	v_fma_f64 v[90:91], v[70:71], s[38:39], v[88:89]
	v_add_f64 v[42:43], v[86:87], v[42:43]
	v_fma_f64 v[86:87], v[52:53], s[40:41], v[92:93]
	;; [unrolled: 2-line block ×4, first 2 shown]
	v_add_f64 v[68:69], v[68:69], v[80:81]
	v_fma_f64 v[60:61], v[62:63], s[38:39], -v[60:61]
	v_add_f64 v[84:85], v[84:85], v[42:43]
	v_mul_f64 v[42:43], v[58:59], s[38:39]
	v_add_f64 v[80:81], v[60:61], v[64:65]
	v_mul_f64 v[64:65], v[46:47], s[26:27]
	v_fma_f64 v[94:95], v[56:57], s[42:43], v[42:43]
	v_fma_f64 v[42:43], v[56:57], s[34:35], v[42:43]
	v_add_f64 v[86:87], v[94:95], v[86:87]
	v_add_f64 v[82:83], v[42:43], v[68:69]
	v_mul_f64 v[42:43], v[40:41], s[18:19]
	v_fma_f64 v[68:69], v[44:45], s[40:41], v[64:65]
	v_fma_f64 v[64:65], v[44:45], s[18:19], v[64:65]
	;; [unrolled: 1-line block ×3, first 2 shown]
	v_add_f64 v[68:69], v[68:69], v[114:115]
	v_fma_f64 v[42:43], v[180:181], s[26:27], -v[42:43]
	v_add_f64 v[64:65], v[64:65], v[106:107]
	v_mul_f64 v[106:107], v[54:55], s[24:25]
	v_mul_f64 v[114:115], v[184:185], s[34:35]
	v_add_f64 v[60:61], v[60:61], v[98:99]
	v_mul_f64 v[98:99], v[54:55], s[20:21]
	v_add_f64 v[42:43], v[42:43], v[122:123]
	v_add_f64 v[60:61], v[90:91], v[60:61]
	v_mul_f64 v[90:91], v[50:51], s[38:39]
	v_fma_f64 v[92:93], v[48:49], s[34:35], v[90:91]
	v_add_f64 v[68:69], v[92:93], v[68:69]
	v_fma_f64 v[92:93], v[66:67], s[20:21], v[96:97]
	v_add_f64 v[60:61], v[92:93], v[60:61]
	v_fma_f64 v[92:93], v[52:53], s[12:13], v[98:99]
	v_add_f64 v[68:69], v[92:93], v[68:69]
	v_fma_f64 v[92:93], v[62:63], s[24:25], v[102:103]
	v_add_f64 v[92:93], v[92:93], v[60:61]
	v_mul_f64 v[60:61], v[58:59], s[24:25]
	v_fma_f64 v[94:95], v[56:57], s[4:5], v[60:61]
	v_fma_f64 v[60:61], v[56:57], s[30:31], v[60:61]
	v_add_f64 v[94:95], v[94:95], v[68:69]
	v_fma_f64 v[68:69], v[70:71], s[38:39], -v[88:89]
	v_add_f64 v[42:43], v[68:69], v[42:43]
	v_fma_f64 v[68:69], v[48:49], s[42:43], v[90:91]
	v_add_f64 v[64:65], v[68:69], v[64:65]
	v_fma_f64 v[68:69], v[66:67], s[20:21], -v[96:97]
	v_mul_f64 v[96:97], v[182:183], s[28:29]
	v_add_f64 v[42:43], v[68:69], v[42:43]
	v_fma_f64 v[68:69], v[52:53], s[36:37], v[98:99]
	v_fma_f64 v[98:99], v[70:71], s[22:23], v[96:97]
	v_add_f64 v[64:65], v[68:69], v[64:65]
	v_fma_f64 v[68:69], v[62:63], s[24:25], -v[102:103]
	v_add_f64 v[90:91], v[60:61], v[64:65]
	v_add_f64 v[88:89], v[68:69], v[42:43]
	v_mul_f64 v[42:43], v[40:41], s[42:43]
	v_mul_f64 v[64:65], v[46:47], s[38:39]
	v_fma_f64 v[60:61], v[180:181], s[38:39], v[42:43]
	v_fma_f64 v[68:69], v[44:45], s[34:35], v[64:65]
	v_fma_f64 v[42:43], v[180:181], s[38:39], -v[42:43]
	v_fma_f64 v[64:65], v[44:45], s[42:43], v[64:65]
	v_add_f64 v[60:61], v[60:61], v[100:101]
	v_add_f64 v[68:69], v[68:69], v[116:117]
	v_add_f64 v[42:43], v[42:43], v[172:173]
	v_add_f64 v[64:65], v[64:65], v[108:109]
	v_mul_f64 v[108:109], v[182:183], s[4:5]
	v_mul_f64 v[116:117], v[54:55], s[38:39]
	;; [unrolled: 1-line block ×3, first 2 shown]
	v_add_f64 v[172:173], v[146:147], -v[154:155]
	v_add_f64 v[60:61], v[98:99], v[60:61]
	v_mul_f64 v[98:99], v[50:51], s[22:23]
	v_fma_f64 v[100:101], v[48:49], s[16:17], v[98:99]
	v_add_f64 v[68:69], v[100:101], v[68:69]
	v_fma_f64 v[100:101], v[66:67], s[24:25], v[104:105]
	v_add_f64 v[60:61], v[100:101], v[60:61]
	;; [unrolled: 2-line block ×4, first 2 shown]
	v_mul_f64 v[60:61], v[58:59], s[26:27]
	v_fma_f64 v[102:103], v[56:57], s[40:41], v[60:61]
	v_fma_f64 v[60:61], v[56:57], s[18:19], v[60:61]
	v_add_f64 v[102:103], v[102:103], v[68:69]
	v_fma_f64 v[68:69], v[70:71], s[22:23], -v[96:97]
	v_add_f64 v[42:43], v[68:69], v[42:43]
	v_fma_f64 v[68:69], v[48:49], s[28:29], v[98:99]
	v_add_f64 v[64:65], v[68:69], v[64:65]
	v_fma_f64 v[68:69], v[66:67], s[24:25], -v[104:105]
	v_fma_f64 v[104:105], v[70:71], s[24:25], v[108:109]
	v_add_f64 v[42:43], v[68:69], v[42:43]
	v_fma_f64 v[68:69], v[52:53], s[4:5], v[106:107]
	v_add_f64 v[64:65], v[68:69], v[64:65]
	v_fma_f64 v[68:69], v[62:63], s[26:27], -v[112:113]
	v_mul_f64 v[112:113], v[50:51], s[24:25]
	v_mul_f64 v[50:51], v[50:51], s[26:27]
	v_add_f64 v[98:99], v[60:61], v[64:65]
	v_add_f64 v[96:97], v[68:69], v[42:43]
	v_mul_f64 v[42:43], v[40:41], s[36:37]
	v_mul_f64 v[64:65], v[46:47], s[20:21]
	;; [unrolled: 1-line block ×4, first 2 shown]
	v_fma_f64 v[60:61], v[180:181], s[20:21], v[42:43]
	v_fma_f64 v[68:69], v[44:45], s[12:13], v[64:65]
	v_fma_f64 v[42:43], v[180:181], s[20:21], -v[42:43]
	v_fma_f64 v[64:65], v[44:45], s[36:37], v[64:65]
	v_add_f64 v[60:61], v[60:61], v[174:175]
	v_add_f64 v[68:69], v[68:69], v[118:119]
	v_mul_f64 v[118:119], v[186:187], s[28:29]
	v_add_f64 v[42:43], v[42:43], v[176:177]
	v_add_f64 v[64:65], v[64:65], v[110:111]
	;; [unrolled: 1-line block ×5, first 2 shown]
	v_fma_f64 v[104:105], v[48:49], s[30:31], v[112:113]
	v_add_f64 v[68:69], v[104:105], v[68:69]
	v_fma_f64 v[104:105], v[66:67], s[38:39], v[114:115]
	v_add_f64 v[60:61], v[104:105], v[60:61]
	v_fma_f64 v[104:105], v[52:53], s[42:43], v[116:117]
	v_add_f64 v[68:69], v[104:105], v[68:69]
	v_fma_f64 v[104:105], v[62:63], s[22:23], v[118:119]
	v_add_f64 v[104:105], v[104:105], v[60:61]
	v_mul_f64 v[60:61], v[58:59], s[22:23]
	v_mul_f64 v[58:59], v[58:59], s[20:21]
	v_fma_f64 v[106:107], v[56:57], s[16:17], v[60:61]
	v_fma_f64 v[60:61], v[56:57], s[28:29], v[60:61]
	v_add_f64 v[106:107], v[106:107], v[68:69]
	v_fma_f64 v[68:69], v[70:71], s[24:25], -v[108:109]
	v_add_f64 v[42:43], v[68:69], v[42:43]
	v_fma_f64 v[68:69], v[48:49], s[4:5], v[112:113]
	v_add_f64 v[64:65], v[68:69], v[64:65]
	v_fma_f64 v[68:69], v[66:67], s[38:39], -v[114:115]
	v_add_f64 v[42:43], v[68:69], v[42:43]
	v_fma_f64 v[68:69], v[52:53], s[34:35], v[116:117]
	v_mul_f64 v[116:117], v[186:187], s[12:13]
	v_add_f64 v[186:187], v[136:137], -v[140:141]
	v_add_f64 v[64:65], v[68:69], v[64:65]
	v_fma_f64 v[68:69], v[62:63], s[22:23], -v[118:119]
	v_add_f64 v[110:111], v[60:61], v[64:65]
	v_add_f64 v[108:109], v[68:69], v[42:43]
	v_fma_f64 v[42:43], v[180:181], s[24:25], v[40:41]
	v_mul_f64 v[64:65], v[182:183], s[18:19]
	v_fma_f64 v[60:61], v[44:45], s[4:5], v[46:47]
	v_fma_f64 v[40:41], v[180:181], s[24:25], -v[40:41]
	v_add_f64 v[180:181], v[138:139], -v[142:143]
	v_add_f64 v[182:183], v[138:139], v[142:143]
	v_add_f64 v[42:43], v[42:43], v[178:179]
	v_fma_f64 v[68:69], v[70:71], s[26:27], v[64:65]
	v_add_f64 v[60:61], v[60:61], v[120:121]
	v_add_f64 v[36:37], v[40:41], v[36:37]
	v_fma_f64 v[40:41], v[70:71], s[26:27], -v[64:65]
	v_add_f64 v[178:179], v[144:145], -v[152:153]
	v_add_f64 v[42:43], v[68:69], v[42:43]
	v_fma_f64 v[68:69], v[48:49], s[40:41], v[50:51]
	v_add_f64 v[36:37], v[40:41], v[36:37]
	v_add_f64 v[60:61], v[68:69], v[60:61]
	v_mul_f64 v[68:69], v[184:185], s[28:29]
	v_add_f64 v[184:185], v[136:137], v[140:141]
	v_fma_f64 v[112:113], v[66:67], s[22:23], v[68:69]
	v_fma_f64 v[40:41], v[66:67], s[22:23], -v[68:69]
	v_add_f64 v[42:43], v[112:113], v[42:43]
	v_fma_f64 v[112:113], v[52:53], s[16:17], v[54:55]
	v_add_f64 v[36:37], v[40:41], v[36:37]
	v_fma_f64 v[40:41], v[62:63], s[20:21], -v[116:117]
	v_add_f64 v[60:61], v[112:113], v[60:61]
	v_fma_f64 v[112:113], v[62:63], s[20:21], v[116:117]
	v_add_f64 v[120:121], v[40:41], v[36:37]
	v_add_f64 v[36:37], v[124:125], v[156:157]
	;; [unrolled: 1-line block ×4, first 2 shown]
	v_fma_f64 v[42:43], v[56:57], s[36:37], v[58:59]
	v_add_f64 v[36:37], v[36:37], v[148:149]
	v_add_f64 v[114:115], v[42:43], v[60:61]
	v_fma_f64 v[42:43], v[44:45], s[30:31], v[46:47]
	v_add_f64 v[36:37], v[36:37], v[144:145]
	v_mul_f64 v[144:145], v[172:173], s[12:13]
	v_add_f64 v[38:39], v[42:43], v[38:39]
	v_fma_f64 v[42:43], v[48:49], s[18:19], v[50:51]
	v_add_f64 v[36:37], v[36:37], v[136:137]
	v_mul_f64 v[136:137], v[180:181], s[18:19]
	v_add_f64 v[38:39], v[42:43], v[38:39]
	v_fma_f64 v[42:43], v[52:53], s[28:29], v[54:55]
	v_add_f64 v[36:37], v[36:37], v[128:129]
	v_add_f64 v[38:39], v[42:43], v[38:39]
	v_fma_f64 v[42:43], v[56:57], s[12:13], v[58:59]
	v_add_f64 v[36:37], v[36:37], v[132:133]
	v_mul_f64 v[132:133], v[188:189], s[34:35]
	v_add_f64 v[122:123], v[42:43], v[38:39]
	v_add_f64 v[38:39], v[126:127], v[158:159]
	;; [unrolled: 1-line block ×3, first 2 shown]
	v_add_f64 v[42:43], v[156:157], -v[164:165]
	v_fma_f64 v[128:129], v[192:193], s[38:39], v[132:133]
	v_add_f64 v[38:39], v[38:39], v[150:151]
	v_add_f64 v[36:37], v[36:37], v[152:153]
	;; [unrolled: 1-line block ×4, first 2 shown]
	v_fma_f64 v[146:147], v[176:177], s[20:21], v[144:145]
	v_add_f64 v[38:39], v[38:39], v[138:139]
	v_add_f64 v[116:117], v[36:37], v[164:165]
	v_add_f64 v[36:37], v[158:159], -v[166:167]
	v_fma_f64 v[138:139], v[184:185], s[26:27], v[136:137]
	v_add_f64 v[38:39], v[38:39], v[130:131]
	v_mul_f64 v[44:45], v[36:37], s[4:5]
	v_mul_f64 v[46:47], v[36:37], s[16:17]
	;; [unrolled: 1-line block ×5, first 2 shown]
	v_add_f64 v[38:39], v[38:39], v[134:135]
	v_fma_f64 v[52:53], v[40:41], s[24:25], v[44:45]
	v_fma_f64 v[44:45], v[40:41], s[24:25], -v[44:45]
	v_fma_f64 v[54:55], v[40:41], s[22:23], v[46:47]
	v_fma_f64 v[46:47], v[40:41], s[22:23], -v[46:47]
	;; [unrolled: 2-line block ×5, first 2 shown]
	v_add_f64 v[38:39], v[38:39], v[142:143]
	v_add_f64 v[44:45], v[124:125], v[44:45]
	;; [unrolled: 1-line block ×15, first 2 shown]
	v_add_f64 v[160:161], v[148:149], -v[160:161]
	v_mul_f64 v[40:41], v[38:39], s[24:25]
	v_mul_f64 v[62:63], v[38:39], s[22:23]
	;; [unrolled: 1-line block ×5, first 2 shown]
	v_fma_f64 v[68:69], v[42:43], s[30:31], v[40:41]
	v_fma_f64 v[70:71], v[42:43], s[28:29], v[62:63]
	;; [unrolled: 1-line block ×10, first 2 shown]
	v_add_f64 v[42:43], v[124:125], v[52:53]
	v_add_f64 v[52:53], v[126:127], v[68:69]
	;; [unrolled: 1-line block ×6, first 2 shown]
	v_add_f64 v[164:165], v[150:151], -v[162:163]
	v_add_f64 v[40:41], v[126:127], v[40:41]
	v_add_f64 v[62:63], v[126:127], v[62:63]
	;; [unrolled: 1-line block ×6, first 2 shown]
	v_mul_f64 v[124:125], v[164:165], s[16:17]
	v_fma_f64 v[126:127], v[166:167], s[22:23], v[124:125]
	v_add_f64 v[42:43], v[126:127], v[42:43]
	v_mul_f64 v[126:127], v[162:163], s[22:23]
	v_add_f64 v[42:43], v[146:147], v[42:43]
	v_fma_f64 v[148:149], v[160:161], s[28:29], v[126:127]
	v_mul_f64 v[146:147], v[174:175], s[20:21]
	v_add_f64 v[42:43], v[138:139], v[42:43]
	v_add_f64 v[52:53], v[148:149], v[52:53]
	v_fma_f64 v[148:149], v[178:179], s[36:37], v[146:147]
	v_mul_f64 v[138:139], v[182:183], s[26:27]
	v_add_f64 v[128:129], v[128:129], v[42:43]
	v_mul_f64 v[42:43], v[190:191], s[38:39]
	v_add_f64 v[52:53], v[148:149], v[52:53]
	v_fma_f64 v[140:141], v[186:187], s[40:41], v[138:139]
	v_fma_f64 v[130:131], v[194:195], s[42:43], v[42:43]
	;; [unrolled: 1-line block ×3, first 2 shown]
	v_add_f64 v[52:53], v[140:141], v[52:53]
	v_mul_f64 v[140:141], v[188:189], s[30:31]
	v_add_f64 v[130:131], v[130:131], v[52:53]
	v_fma_f64 v[52:53], v[166:167], s[22:23], -v[124:125]
	v_add_f64 v[44:45], v[52:53], v[44:45]
	v_fma_f64 v[52:53], v[160:161], s[16:17], v[126:127]
	v_add_f64 v[40:41], v[52:53], v[40:41]
	v_fma_f64 v[52:53], v[176:177], s[20:21], -v[144:145]
	v_add_f64 v[44:45], v[52:53], v[44:45]
	v_fma_f64 v[52:53], v[178:179], s[12:13], v[146:147]
	;; [unrolled: 4-line block ×3, first 2 shown]
	v_add_f64 v[40:41], v[52:53], v[40:41]
	v_fma_f64 v[52:53], v[192:193], s[38:39], -v[132:133]
	v_add_f64 v[126:127], v[42:43], v[40:41]
	v_mul_f64 v[40:41], v[164:165], s[18:19]
	v_add_f64 v[124:125], v[52:53], v[44:45]
	v_mul_f64 v[44:45], v[162:163], s[26:27]
	v_fma_f64 v[42:43], v[166:167], s[26:27], v[40:41]
	v_fma_f64 v[40:41], v[166:167], s[26:27], -v[40:41]
	v_fma_f64 v[52:53], v[160:161], s[40:41], v[44:45]
	v_fma_f64 v[44:45], v[160:161], s[18:19], v[44:45]
	v_add_f64 v[42:43], v[42:43], v[54:55]
	v_mul_f64 v[54:55], v[172:173], s[42:43]
	v_add_f64 v[52:53], v[52:53], v[68:69]
	v_add_f64 v[40:41], v[40:41], v[46:47]
	;; [unrolled: 1-line block ×3, first 2 shown]
	v_fma_f64 v[68:69], v[176:177], s[38:39], v[54:55]
	v_fma_f64 v[46:47], v[176:177], s[38:39], -v[54:55]
	v_add_f64 v[42:43], v[68:69], v[42:43]
	v_mul_f64 v[68:69], v[174:175], s[38:39]
	v_add_f64 v[40:41], v[46:47], v[40:41]
	v_fma_f64 v[132:133], v[178:179], s[34:35], v[68:69]
	v_fma_f64 v[46:47], v[178:179], s[42:43], v[68:69]
	v_add_f64 v[52:53], v[132:133], v[52:53]
	v_mul_f64 v[132:133], v[180:181], s[36:37]
	v_add_f64 v[44:45], v[46:47], v[44:45]
	v_fma_f64 v[134:135], v[184:185], s[20:21], v[132:133]
	v_fma_f64 v[46:47], v[184:185], s[20:21], -v[132:133]
	v_add_f64 v[42:43], v[134:135], v[42:43]
	v_mul_f64 v[134:135], v[182:183], s[20:21]
	v_add_f64 v[40:41], v[46:47], v[40:41]
	v_fma_f64 v[136:137], v[186:187], s[12:13], v[134:135]
	v_fma_f64 v[46:47], v[186:187], s[36:37], v[134:135]
	v_add_f64 v[52:53], v[136:137], v[52:53]
	v_fma_f64 v[136:137], v[192:193], s[24:25], v[140:141]
	v_add_f64 v[44:45], v[46:47], v[44:45]
	v_fma_f64 v[46:47], v[192:193], s[24:25], -v[140:141]
	v_add_f64 v[136:137], v[136:137], v[42:43]
	v_mul_f64 v[42:43], v[190:191], s[24:25]
	v_add_f64 v[132:133], v[46:47], v[40:41]
	v_mul_f64 v[40:41], v[164:165], s[42:43]
	v_fma_f64 v[138:139], v[194:195], s[4:5], v[42:43]
	v_fma_f64 v[42:43], v[194:195], s[30:31], v[42:43]
	v_add_f64 v[138:139], v[138:139], v[52:53]
	v_add_f64 v[134:135], v[42:43], v[44:45]
	v_fma_f64 v[42:43], v[166:167], s[38:39], v[40:41]
	v_mul_f64 v[52:53], v[172:173], s[28:29]
	v_mul_f64 v[44:45], v[162:163], s[38:39]
	v_fma_f64 v[40:41], v[166:167], s[38:39], -v[40:41]
	v_add_f64 v[42:43], v[42:43], v[56:57]
	v_fma_f64 v[54:55], v[176:177], s[22:23], v[52:53]
	v_fma_f64 v[46:47], v[160:161], s[34:35], v[44:45]
	v_add_f64 v[40:41], v[40:41], v[48:49]
	v_fma_f64 v[44:45], v[160:161], s[42:43], v[44:45]
	v_mul_f64 v[48:49], v[172:173], s[4:5]
	v_add_f64 v[42:43], v[54:55], v[42:43]
	v_mul_f64 v[54:55], v[174:175], s[22:23]
	v_add_f64 v[46:47], v[46:47], v[70:71]
	v_add_f64 v[44:45], v[44:45], v[64:65]
	v_fma_f64 v[56:57], v[178:179], s[16:17], v[54:55]
	v_add_f64 v[46:47], v[56:57], v[46:47]
	v_mul_f64 v[56:57], v[180:181], s[4:5]
	v_fma_f64 v[62:63], v[184:185], s[24:25], v[56:57]
	v_add_f64 v[42:43], v[62:63], v[42:43]
	v_mul_f64 v[62:63], v[182:183], s[24:25]
	;; [unrolled: 3-line block ×4, first 2 shown]
	v_fma_f64 v[70:71], v[194:195], s[40:41], v[42:43]
	v_fma_f64 v[42:43], v[194:195], s[18:19], v[42:43]
	v_add_f64 v[146:147], v[70:71], v[46:47]
	v_fma_f64 v[46:47], v[176:177], s[22:23], -v[52:53]
	v_fma_f64 v[52:53], v[176:177], s[24:25], v[48:49]
	v_add_f64 v[40:41], v[46:47], v[40:41]
	v_fma_f64 v[46:47], v[178:179], s[28:29], v[54:55]
	v_add_f64 v[44:45], v[46:47], v[44:45]
	v_fma_f64 v[46:47], v[184:185], s[24:25], -v[56:57]
	v_add_f64 v[40:41], v[46:47], v[40:41]
	v_fma_f64 v[46:47], v[186:187], s[4:5], v[62:63]
	v_add_f64 v[44:45], v[46:47], v[44:45]
	v_fma_f64 v[46:47], v[192:193], s[26:27], -v[68:69]
	v_add_f64 v[142:143], v[42:43], v[44:45]
	v_add_f64 v[140:141], v[46:47], v[40:41]
	v_mul_f64 v[40:41], v[164:165], s[36:37]
	v_mul_f64 v[44:45], v[162:163], s[20:21]
	v_fma_f64 v[42:43], v[166:167], s[20:21], v[40:41]
	v_fma_f64 v[46:47], v[160:161], s[12:13], v[44:45]
	v_fma_f64 v[40:41], v[166:167], s[20:21], -v[40:41]
	v_fma_f64 v[44:45], v[160:161], s[36:37], v[44:45]
	v_add_f64 v[42:43], v[42:43], v[58:59]
	v_add_f64 v[46:47], v[46:47], v[156:157]
	;; [unrolled: 1-line block ×5, first 2 shown]
	v_mul_f64 v[52:53], v[174:175], s[24:25]
	v_fma_f64 v[54:55], v[178:179], s[30:31], v[52:53]
	v_add_f64 v[46:47], v[54:55], v[46:47]
	v_mul_f64 v[54:55], v[180:181], s[34:35]
	v_fma_f64 v[56:57], v[184:185], s[38:39], v[54:55]
	v_add_f64 v[42:43], v[56:57], v[42:43]
	;; [unrolled: 3-line block ×4, first 2 shown]
	v_mul_f64 v[42:43], v[190:191], s[22:23]
	v_fma_f64 v[62:63], v[194:195], s[16:17], v[42:43]
	v_fma_f64 v[42:43], v[194:195], s[28:29], v[42:43]
	v_add_f64 v[150:151], v[62:63], v[46:47]
	v_fma_f64 v[46:47], v[176:177], s[24:25], -v[48:49]
	v_mul_f64 v[48:49], v[172:173], s[18:19]
	v_add_f64 v[172:173], v[16:17], v[20:21]
	v_add_f64 v[40:41], v[46:47], v[40:41]
	v_fma_f64 v[46:47], v[178:179], s[4:5], v[52:53]
	v_fma_f64 v[50:51], v[176:177], s[26:27], v[48:49]
	v_add_f64 v[44:45], v[46:47], v[44:45]
	v_fma_f64 v[46:47], v[184:185], s[38:39], -v[54:55]
	v_add_f64 v[40:41], v[46:47], v[40:41]
	v_fma_f64 v[46:47], v[186:187], s[34:35], v[56:57]
	v_add_f64 v[44:45], v[46:47], v[44:45]
	v_fma_f64 v[46:47], v[192:193], s[22:23], -v[58:59]
	v_mul_f64 v[58:59], v[190:191], s[20:21]
	v_add_f64 v[190:191], v[0:1], -v[4:5]
	v_add_f64 v[154:155], v[42:43], v[44:45]
	v_add_f64 v[152:153], v[46:47], v[40:41]
	v_mul_f64 v[40:41], v[164:165], s[30:31]
	v_mul_f64 v[44:45], v[162:163], s[24:25]
	v_fma_f64 v[42:43], v[166:167], s[24:25], v[40:41]
	v_fma_f64 v[46:47], v[160:161], s[4:5], v[44:45]
	v_fma_f64 v[40:41], v[166:167], s[24:25], -v[40:41]
	v_add_f64 v[42:43], v[42:43], v[60:61]
	v_add_f64 v[46:47], v[46:47], v[158:159]
	;; [unrolled: 1-line block ×3, first 2 shown]
	v_fma_f64 v[40:41], v[176:177], s[26:27], -v[48:49]
	v_add_f64 v[176:177], v[10:11], -v[14:15]
	v_add_f64 v[42:43], v[50:51], v[42:43]
	v_mul_f64 v[50:51], v[174:175], s[26:27]
	v_add_f64 v[174:175], v[16:17], -v[20:21]
	v_add_f64 v[36:37], v[40:41], v[36:37]
	v_fma_f64 v[52:53], v[178:179], s[40:41], v[50:51]
	v_add_f64 v[46:47], v[52:53], v[46:47]
	v_mul_f64 v[52:53], v[180:181], s[28:29]
	v_add_f64 v[180:181], v[8:9], v[12:13]
	v_fma_f64 v[54:55], v[184:185], s[22:23], v[52:53]
	v_fma_f64 v[40:41], v[184:185], s[22:23], -v[52:53]
	v_add_f64 v[184:185], v[2:3], -v[6:7]
	v_add_f64 v[42:43], v[54:55], v[42:43]
	v_mul_f64 v[54:55], v[182:183], s[22:23]
	v_add_f64 v[36:37], v[40:41], v[36:37]
	v_add_f64 v[182:183], v[8:9], -v[12:13]
	v_fma_f64 v[56:57], v[186:187], s[16:17], v[54:55]
	v_add_f64 v[46:47], v[56:57], v[46:47]
	v_mul_f64 v[56:57], v[188:189], s[12:13]
	v_add_f64 v[188:189], v[0:1], v[4:5]
	v_fma_f64 v[60:61], v[192:193], s[20:21], v[56:57]
	v_fma_f64 v[40:41], v[192:193], s[20:21], -v[56:57]
	v_add_f64 v[156:157], v[60:61], v[42:43]
	v_fma_f64 v[42:43], v[194:195], s[36:37], v[58:59]
	v_add_f64 v[164:165], v[40:41], v[36:37]
	v_add_f64 v[36:37], v[72:73], v[32:33]
	;; [unrolled: 1-line block ×3, first 2 shown]
	v_fma_f64 v[42:43], v[160:161], s[30:31], v[44:45]
	v_add_f64 v[36:37], v[36:37], v[24:25]
	v_add_f64 v[38:39], v[42:43], v[38:39]
	v_fma_f64 v[42:43], v[178:179], s[18:19], v[50:51]
	v_add_f64 v[36:37], v[36:37], v[16:17]
	v_add_f64 v[178:179], v[10:11], v[14:15]
	v_add_f64 v[38:39], v[42:43], v[38:39]
	v_fma_f64 v[42:43], v[186:187], s[28:29], v[54:55]
	v_add_f64 v[36:37], v[36:37], v[8:9]
	v_mul_f64 v[8:9], v[176:177], s[18:19]
	v_add_f64 v[186:187], v[2:3], v[6:7]
	v_add_f64 v[38:39], v[42:43], v[38:39]
	v_fma_f64 v[42:43], v[194:195], s[12:13], v[58:59]
	v_add_f64 v[36:37], v[36:37], v[0:1]
	v_add_f64 v[166:167], v[42:43], v[38:39]
	;; [unrolled: 1-line block ×4, first 2 shown]
	v_mul_f64 v[4:5], v[184:185], s[34:35]
	v_add_f64 v[38:39], v[38:39], v[26:27]
	v_add_f64 v[36:37], v[36:37], v[12:13]
	v_mul_f64 v[12:13], v[178:179], s[26:27]
	v_fma_f64 v[0:1], v[188:189], s[38:39], v[4:5]
	v_fma_f64 v[4:5], v[188:189], s[38:39], -v[4:5]
	v_add_f64 v[38:39], v[38:39], v[18:19]
	v_add_f64 v[36:37], v[36:37], v[20:21]
	v_add_f64 v[38:39], v[38:39], v[10:11]
	v_add_f64 v[36:37], v[36:37], v[28:29]
	v_fma_f64 v[10:11], v[180:181], s[26:27], v[8:9]
	v_fma_f64 v[8:9], v[180:181], s[26:27], -v[8:9]
	v_add_f64 v[38:39], v[38:39], v[2:3]
	v_add_f64 v[160:161], v[36:37], v[168:169]
	v_add_f64 v[36:37], v[34:35], -v[170:171]
	v_add_f64 v[34:35], v[34:35], v[170:171]
	v_add_f64 v[38:39], v[38:39], v[6:7]
	v_mul_f64 v[6:7], v[186:187], s[38:39]
	v_mul_f64 v[40:41], v[36:37], s[4:5]
	;; [unrolled: 1-line block ×9, first 2 shown]
	v_add_f64 v[38:39], v[38:39], v[14:15]
	v_fma_f64 v[14:15], v[182:183], s[40:41], v[12:13]
	v_fma_f64 v[2:3], v[190:191], s[42:43], v[6:7]
	v_fma_f64 v[6:7], v[190:191], s[34:35], v[6:7]
	v_add_f64 v[38:39], v[38:39], v[22:23]
	v_add_f64 v[38:39], v[38:39], v[30:31]
	v_add_f64 v[162:163], v[38:39], v[170:171]
	v_add_f64 v[38:39], v[32:33], v[168:169]
	v_add_f64 v[32:33], v[32:33], -v[168:169]
	v_add_f64 v[170:171], v[24:25], -v[28:29]
	v_fma_f64 v[48:49], v[38:39], s[24:25], v[40:41]
	v_fma_f64 v[40:41], v[38:39], s[24:25], -v[40:41]
	v_fma_f64 v[50:51], v[38:39], s[22:23], v[42:43]
	v_fma_f64 v[42:43], v[38:39], s[22:23], -v[42:43]
	;; [unrolled: 2-line block ×5, first 2 shown]
	v_mul_f64 v[38:39], v[34:35], s[24:25]
	v_mul_f64 v[34:35], v[34:35], s[38:39]
	v_fma_f64 v[66:67], v[32:33], s[28:29], v[58:59]
	v_fma_f64 v[58:59], v[32:33], s[16:17], v[58:59]
	;; [unrolled: 1-line block ×6, first 2 shown]
	v_add_f64 v[40:41], v[72:73], v[40:41]
	v_add_f64 v[50:51], v[72:73], v[50:51]
	v_add_f64 v[42:43], v[72:73], v[42:43]
	v_add_f64 v[52:53], v[72:73], v[52:53]
	v_add_f64 v[44:45], v[72:73], v[44:45]
	v_add_f64 v[54:55], v[72:73], v[54:55]
	v_add_f64 v[46:47], v[72:73], v[46:47]
	v_add_f64 v[56:57], v[72:73], v[56:57]
	v_add_f64 v[36:37], v[72:73], v[36:37]
	v_fma_f64 v[64:65], v[32:33], s[30:31], v[38:39]
	v_fma_f64 v[38:39], v[32:33], s[4:5], v[38:39]
	;; [unrolled: 1-line block ×4, first 2 shown]
	v_add_f64 v[34:35], v[72:73], v[48:49]
	v_add_f64 v[58:59], v[74:75], v[58:59]
	;; [unrolled: 1-line block ×8, first 2 shown]
	v_add_f64 v[32:33], v[26:27], -v[30:31]
	v_add_f64 v[68:69], v[74:75], v[70:71]
	v_add_f64 v[70:71], v[74:75], v[168:169]
	;; [unrolled: 1-line block ×5, first 2 shown]
	v_mul_f64 v[24:25], v[32:33], s[16:17]
	v_mul_f64 v[28:29], v[74:75], s[22:23]
	v_fma_f64 v[26:27], v[168:169], s[22:23], v[24:25]
	v_fma_f64 v[30:31], v[170:171], s[28:29], v[28:29]
	v_add_f64 v[26:27], v[26:27], v[34:35]
	v_add_f64 v[34:35], v[18:19], -v[22:23]
	v_add_f64 v[30:31], v[30:31], v[48:49]
	v_add_f64 v[48:49], v[18:19], v[22:23]
	v_mul_f64 v[16:17], v[34:35], s[12:13]
	v_mul_f64 v[20:21], v[48:49], s[20:21]
	v_fma_f64 v[18:19], v[172:173], s[20:21], v[16:17]
	v_fma_f64 v[16:17], v[172:173], s[20:21], -v[16:17]
	v_fma_f64 v[22:23], v[174:175], s[36:37], v[20:21]
	v_add_f64 v[18:19], v[18:19], v[26:27]
	v_add_f64 v[22:23], v[22:23], v[30:31]
	;; [unrolled: 1-line block ×5, first 2 shown]
	v_fma_f64 v[10:11], v[168:169], s[22:23], -v[24:25]
	v_add_f64 v[2:3], v[2:3], v[14:15]
	v_fma_f64 v[14:15], v[170:171], s[16:17], v[28:29]
	v_add_f64 v[10:11], v[10:11], v[40:41]
	v_add_f64 v[14:15], v[14:15], v[38:39]
	;; [unrolled: 1-line block ×3, first 2 shown]
	v_fma_f64 v[16:17], v[174:175], s[12:13], v[20:21]
	v_add_f64 v[8:9], v[8:9], v[10:11]
	v_fma_f64 v[10:11], v[182:183], s[18:19], v[12:13]
	v_mul_f64 v[12:13], v[32:33], s[18:19]
	v_add_f64 v[14:15], v[16:17], v[14:15]
	v_mul_f64 v[16:17], v[34:35], s[42:43]
	v_add_f64 v[4:5], v[4:5], v[8:9]
	v_fma_f64 v[8:9], v[168:169], s[26:27], v[12:13]
	v_add_f64 v[10:11], v[10:11], v[14:15]
	v_mul_f64 v[14:15], v[74:75], s[26:27]
	v_fma_f64 v[18:19], v[172:173], s[38:39], v[16:17]
	v_fma_f64 v[12:13], v[168:169], s[26:27], -v[12:13]
	v_fma_f64 v[16:17], v[172:173], s[38:39], -v[16:17]
	v_add_f64 v[8:9], v[8:9], v[50:51]
	v_add_f64 v[6:7], v[6:7], v[10:11]
	v_fma_f64 v[10:11], v[170:171], s[40:41], v[14:15]
	v_fma_f64 v[14:15], v[170:171], s[18:19], v[14:15]
	v_add_f64 v[12:13], v[12:13], v[42:43]
	v_add_f64 v[8:9], v[18:19], v[8:9]
	v_mul_f64 v[18:19], v[48:49], s[38:39]
	v_add_f64 v[10:11], v[10:11], v[64:65]
	v_add_f64 v[14:15], v[14:15], v[58:59]
	;; [unrolled: 1-line block ×3, first 2 shown]
	v_fma_f64 v[20:21], v[174:175], s[34:35], v[18:19]
	v_fma_f64 v[16:17], v[174:175], s[42:43], v[18:19]
	v_add_f64 v[10:11], v[20:21], v[10:11]
	v_mul_f64 v[20:21], v[176:177], s[36:37]
	v_add_f64 v[14:15], v[16:17], v[14:15]
	v_fma_f64 v[22:23], v[180:181], s[20:21], v[20:21]
	v_fma_f64 v[16:17], v[180:181], s[20:21], -v[20:21]
	v_mul_f64 v[20:21], v[32:33], s[42:43]
	v_add_f64 v[8:9], v[22:23], v[8:9]
	v_mul_f64 v[22:23], v[178:179], s[20:21]
	v_add_f64 v[12:13], v[16:17], v[12:13]
	v_fma_f64 v[24:25], v[182:183], s[12:13], v[22:23]
	v_fma_f64 v[16:17], v[182:183], s[36:37], v[22:23]
	v_mul_f64 v[22:23], v[74:75], s[38:39]
	v_add_f64 v[10:11], v[24:25], v[10:11]
	v_mul_f64 v[24:25], v[184:185], s[30:31]
	v_add_f64 v[14:15], v[16:17], v[14:15]
	v_fma_f64 v[26:27], v[188:189], s[24:25], v[24:25]
	v_fma_f64 v[16:17], v[188:189], s[24:25], -v[24:25]
	v_mul_f64 v[24:25], v[34:35], s[28:29]
	v_add_f64 v[8:9], v[26:27], v[8:9]
	v_mul_f64 v[26:27], v[186:187], s[24:25]
	v_add_f64 v[12:13], v[16:17], v[12:13]
	v_fma_f64 v[16:17], v[168:169], s[38:39], v[20:21]
	v_fma_f64 v[20:21], v[168:169], s[38:39], -v[20:21]
	v_fma_f64 v[28:29], v[190:191], s[4:5], v[26:27]
	v_fma_f64 v[18:19], v[190:191], s[30:31], v[26:27]
	v_add_f64 v[16:17], v[16:17], v[52:53]
	v_fma_f64 v[26:27], v[172:173], s[22:23], v[24:25]
	v_add_f64 v[20:21], v[20:21], v[44:45]
	v_fma_f64 v[24:25], v[172:173], s[22:23], -v[24:25]
	v_add_f64 v[10:11], v[28:29], v[10:11]
	v_add_f64 v[14:15], v[18:19], v[14:15]
	v_fma_f64 v[18:19], v[170:171], s[34:35], v[22:23]
	v_add_f64 v[16:17], v[26:27], v[16:17]
	v_mul_f64 v[26:27], v[48:49], s[22:23]
	v_fma_f64 v[22:23], v[170:171], s[42:43], v[22:23]
	v_add_f64 v[20:21], v[24:25], v[20:21]
	v_add_f64 v[18:19], v[18:19], v[66:67]
	v_fma_f64 v[28:29], v[174:175], s[16:17], v[26:27]
	v_add_f64 v[22:23], v[22:23], v[60:61]
	v_fma_f64 v[24:25], v[174:175], s[28:29], v[26:27]
	v_add_f64 v[18:19], v[28:29], v[18:19]
	v_mul_f64 v[28:29], v[176:177], s[4:5]
	v_add_f64 v[22:23], v[24:25], v[22:23]
	v_fma_f64 v[30:31], v[180:181], s[24:25], v[28:29]
	v_fma_f64 v[24:25], v[180:181], s[24:25], -v[28:29]
	v_mul_f64 v[28:29], v[32:33], s[36:37]
	v_add_f64 v[16:17], v[30:31], v[16:17]
	v_mul_f64 v[30:31], v[178:179], s[24:25]
	v_add_f64 v[20:21], v[24:25], v[20:21]
	v_fma_f64 v[38:39], v[182:183], s[30:31], v[30:31]
	v_fma_f64 v[24:25], v[182:183], s[4:5], v[30:31]
	v_mul_f64 v[30:31], v[74:75], s[20:21]
	v_add_f64 v[18:19], v[38:39], v[18:19]
	v_mul_f64 v[38:39], v[184:185], s[18:19]
	v_add_f64 v[22:23], v[24:25], v[22:23]
	v_fma_f64 v[40:41], v[188:189], s[26:27], v[38:39]
	v_fma_f64 v[24:25], v[188:189], s[26:27], -v[38:39]
	v_mul_f64 v[38:39], v[34:35], s[4:5]
	v_add_f64 v[16:17], v[40:41], v[16:17]
	v_mul_f64 v[40:41], v[186:187], s[26:27]
	v_add_f64 v[20:21], v[24:25], v[20:21]
	v_fma_f64 v[24:25], v[168:169], s[20:21], v[28:29]
	v_fma_f64 v[28:29], v[168:169], s[20:21], -v[28:29]
	v_fma_f64 v[42:43], v[190:191], s[40:41], v[40:41]
	v_fma_f64 v[26:27], v[190:191], s[18:19], v[40:41]
	v_add_f64 v[24:25], v[24:25], v[54:55]
	v_fma_f64 v[40:41], v[172:173], s[24:25], v[38:39]
	v_add_f64 v[28:29], v[28:29], v[46:47]
	v_fma_f64 v[38:39], v[172:173], s[24:25], -v[38:39]
	v_mul_f64 v[46:47], v[48:49], s[26:27]
	v_add_f64 v[18:19], v[42:43], v[18:19]
	v_add_f64 v[22:23], v[26:27], v[22:23]
	v_fma_f64 v[26:27], v[170:171], s[12:13], v[30:31]
	v_add_f64 v[24:25], v[40:41], v[24:25]
	v_mul_f64 v[40:41], v[48:49], s[24:25]
	v_fma_f64 v[30:31], v[170:171], s[36:37], v[30:31]
	v_add_f64 v[28:29], v[38:39], v[28:29]
	v_add_f64 v[26:27], v[26:27], v[68:69]
	v_fma_f64 v[42:43], v[174:175], s[30:31], v[40:41]
	v_add_f64 v[30:31], v[30:31], v[62:63]
	v_fma_f64 v[38:39], v[174:175], s[4:5], v[40:41]
	v_add_f64 v[26:27], v[42:43], v[26:27]
	v_mul_f64 v[42:43], v[176:177], s[34:35]
	v_add_f64 v[30:31], v[38:39], v[30:31]
	v_fma_f64 v[44:45], v[180:181], s[38:39], v[42:43]
	v_fma_f64 v[38:39], v[180:181], s[38:39], -v[42:43]
	v_add_f64 v[24:25], v[44:45], v[24:25]
	v_mul_f64 v[44:45], v[178:179], s[38:39]
	v_add_f64 v[28:29], v[38:39], v[28:29]
	v_fma_f64 v[50:51], v[182:183], s[42:43], v[44:45]
	v_fma_f64 v[38:39], v[182:183], s[34:35], v[44:45]
	v_mul_f64 v[44:45], v[34:35], s[18:19]
	v_add_f64 v[26:27], v[50:51], v[26:27]
	v_mul_f64 v[50:51], v[184:185], s[28:29]
	v_add_f64 v[30:31], v[38:39], v[30:31]
	v_fma_f64 v[34:35], v[172:173], s[26:27], v[44:45]
	v_fma_f64 v[52:53], v[188:189], s[22:23], v[50:51]
	v_fma_f64 v[38:39], v[188:189], s[22:23], -v[50:51]
	v_add_f64 v[24:25], v[52:53], v[24:25]
	v_mul_f64 v[52:53], v[186:187], s[22:23]
	v_add_f64 v[28:29], v[38:39], v[28:29]
	v_mul_f64 v[38:39], v[32:33], s[30:31]
	v_fma_f64 v[40:41], v[190:191], s[28:29], v[52:53]
	v_fma_f64 v[54:55], v[190:191], s[16:17], v[52:53]
	;; [unrolled: 1-line block ×3, first 2 shown]
	v_fma_f64 v[38:39], v[168:169], s[24:25], -v[38:39]
	v_mul_f64 v[52:53], v[186:187], s[20:21]
	v_add_f64 v[30:31], v[40:41], v[30:31]
	v_mul_f64 v[40:41], v[74:75], s[24:25]
	v_add_f64 v[32:33], v[32:33], v[56:57]
	v_add_f64 v[36:37], v[38:39], v[36:37]
	;; [unrolled: 1-line block ×3, first 2 shown]
	v_fma_f64 v[42:43], v[170:171], s[4:5], v[40:41]
	v_add_f64 v[32:33], v[34:35], v[32:33]
	v_fma_f64 v[34:35], v[174:175], s[40:41], v[46:47]
	v_fma_f64 v[40:41], v[170:171], s[30:31], v[40:41]
	v_add_f64 v[42:43], v[42:43], v[70:71]
	v_add_f64 v[38:39], v[40:41], v[72:73]
	v_fma_f64 v[40:41], v[172:173], s[26:27], -v[44:45]
	v_fma_f64 v[44:45], v[174:175], s[18:19], v[46:47]
	v_add_f64 v[34:35], v[34:35], v[42:43]
	v_mul_f64 v[42:43], v[176:177], s[28:29]
	v_add_f64 v[36:37], v[40:41], v[36:37]
	v_add_f64 v[38:39], v[44:45], v[38:39]
	v_fma_f64 v[48:49], v[180:181], s[22:23], v[42:43]
	v_fma_f64 v[40:41], v[180:181], s[22:23], -v[42:43]
	v_add_f64 v[32:33], v[48:49], v[32:33]
	v_mul_f64 v[48:49], v[178:179], s[22:23]
	v_add_f64 v[36:37], v[40:41], v[36:37]
	v_fma_f64 v[50:51], v[182:183], s[16:17], v[48:49]
	v_fma_f64 v[42:43], v[182:183], s[28:29], v[48:49]
	v_add_f64 v[34:35], v[50:51], v[34:35]
	v_mul_f64 v[50:51], v[184:185], s[12:13]
	v_add_f64 v[38:39], v[42:43], v[38:39]
	v_fma_f64 v[42:43], v[190:191], s[12:13], v[52:53]
	v_fma_f64 v[54:55], v[188:189], s[20:21], v[50:51]
	v_fma_f64 v[40:41], v[188:189], s[20:21], -v[50:51]
	v_add_f64 v[38:39], v[42:43], v[38:39]
	v_add_f64 v[32:33], v[54:55], v[32:33]
	v_fma_f64 v[54:55], v[190:191], s[36:37], v[52:53]
	v_add_f64 v[36:37], v[40:41], v[36:37]
	v_add_f64 v[34:35], v[54:55], v[34:35]
	ds_write_b128 v244, v[76:79]
	ds_write_b128 v244, v[84:87] offset:816
	ds_write_b128 v244, v[92:95] offset:1632
	;; [unrolled: 1-line block ×32, first 2 shown]
	s_waitcnt lgkmcnt(0)
	s_barrier
	buffer_gl0_inv
	ds_read_b128 v[0:3], v244 offset:8976
	ds_read_b128 v[4:7], v244 offset:17952
	;; [unrolled: 1-line block ×5, first 2 shown]
	s_clause 0x3
	buffer_load_dword v58, off, s[60:63], 0 offset:976
	buffer_load_dword v59, off, s[60:63], 0 offset:980
	;; [unrolled: 1-line block ×4, first 2 shown]
	ds_read_b128 v[16:19], v244 offset:10608
	ds_read_b128 v[20:23], v244 offset:19584
	s_clause 0x3
	buffer_load_dword v64, off, s[60:63], 0 offset:960
	buffer_load_dword v65, off, s[60:63], 0 offset:964
	;; [unrolled: 1-line block ×4, first 2 shown]
	ds_read_b128 v[24:27], v244
	ds_read_b128 v[28:31], v244 offset:816
	s_clause 0x3
	buffer_load_dword v104, off, s[60:63], 0 offset:1008
	buffer_load_dword v105, off, s[60:63], 0 offset:1012
	;; [unrolled: 1-line block ×4, first 2 shown]
	ds_read_b128 v[32:35], v244 offset:1632
	ds_read_b128 v[36:39], v244 offset:2448
	;; [unrolled: 1-line block ×7, first 2 shown]
	s_clause 0xb
	buffer_load_dword v100, off, s[60:63], 0 offset:992
	buffer_load_dword v101, off, s[60:63], 0 offset:996
	;; [unrolled: 1-line block ×12, first 2 shown]
	s_waitcnt vmcnt(20) lgkmcnt(15)
	v_mul_f64 v[40:41], v[60:61], v[2:3]
	v_mul_f64 v[42:43], v[60:61], v[0:1]
	s_waitcnt vmcnt(16) lgkmcnt(14)
	v_mul_f64 v[44:45], v[66:67], v[6:7]
	v_mul_f64 v[46:47], v[66:67], v[4:5]
	;; [unrolled: 3-line block ×4, first 2 shown]
	s_waitcnt vmcnt(4) lgkmcnt(10)
	v_mul_f64 v[56:57], v[110:111], v[18:19]
	s_waitcnt vmcnt(0) lgkmcnt(9)
	v_mul_f64 v[60:61], v[114:115], v[22:23]
	v_mul_f64 v[62:63], v[114:115], v[20:21]
	v_fma_f64 v[40:41], v[58:59], v[0:1], v[40:41]
	v_fma_f64 v[42:43], v[58:59], v[2:3], -v[42:43]
	ds_read_b128 v[0:3], v244 offset:21216
	ds_read_b128 v[96:99], v244 offset:22032
	v_fma_f64 v[44:45], v[64:65], v[4:5], v[44:45]
	v_fma_f64 v[46:47], v[64:65], v[6:7], -v[46:47]
	ds_read_b128 v[4:7], v244 offset:13056
	s_clause 0x7
	buffer_load_dword v116, off, s[60:63], 0 offset:1072
	buffer_load_dword v117, off, s[60:63], 0 offset:1076
	;; [unrolled: 1-line block ×8, first 2 shown]
	v_mul_f64 v[58:59], v[110:111], v[16:17]
	v_fma_f64 v[48:49], v[104:105], v[8:9], v[48:49]
	v_fma_f64 v[50:51], v[104:105], v[10:11], -v[50:51]
	ds_read_b128 v[8:11], v244 offset:13872
	v_fma_f64 v[52:53], v[100:101], v[12:13], v[52:53]
	v_fma_f64 v[54:55], v[100:101], v[14:15], -v[54:55]
	v_fma_f64 v[56:57], v[108:109], v[16:17], v[56:57]
	v_fma_f64 v[60:61], v[112:113], v[20:21], v[60:61]
	v_fma_f64 v[62:63], v[112:113], v[22:23], -v[62:63]
	v_fma_f64 v[58:59], v[108:109], v[18:19], -v[58:59]
	s_waitcnt vmcnt(4) lgkmcnt(8)
	v_mul_f64 v[64:65], v[118:119], v[78:79]
	s_waitcnt vmcnt(0) lgkmcnt(7)
	v_mul_f64 v[68:69], v[122:123], v[82:83]
	v_mul_f64 v[70:71], v[122:123], v[80:81]
	s_clause 0x3
	buffer_load_dword v122, off, s[60:63], 0 offset:1104
	buffer_load_dword v123, off, s[60:63], 0 offset:1108
	buffer_load_dword v124, off, s[60:63], 0 offset:1112
	buffer_load_dword v125, off, s[60:63], 0 offset:1116
	ds_read_b128 v[12:15], v244 offset:14688
	ds_read_b128 v[100:103], v244 offset:22848
	s_clause 0x7
	buffer_load_dword v130, off, s[60:63], 0 offset:1088
	buffer_load_dword v131, off, s[60:63], 0 offset:1092
	;; [unrolled: 1-line block ×8, first 2 shown]
	ds_read_b128 v[16:19], v244 offset:23664
	ds_read_b128 v[20:23], v244 offset:15504
	s_clause 0x7
	buffer_load_dword v138, off, s[60:63], 0 offset:1120
	buffer_load_dword v139, off, s[60:63], 0 offset:1124
	;; [unrolled: 1-line block ×8, first 2 shown]
	v_mul_f64 v[66:67], v[118:119], v[76:77]
	v_fma_f64 v[64:65], v[116:117], v[76:77], v[64:65]
	v_fma_f64 v[68:69], v[120:121], v[80:81], v[68:69]
	v_fma_f64 v[70:71], v[120:121], v[82:83], -v[70:71]
	v_fma_f64 v[66:67], v[116:117], v[78:79], -v[66:67]
	s_waitcnt vmcnt(16) lgkmcnt(10)
	v_mul_f64 v[104:105], v[124:125], v[86:87]
	v_mul_f64 v[106:107], v[124:125], v[84:85]
	s_waitcnt vmcnt(12) lgkmcnt(7)
	v_mul_f64 v[108:109], v[132:133], v[2:3]
	v_mul_f64 v[110:111], v[132:133], v[0:1]
	s_waitcnt vmcnt(8) lgkmcnt(5)
	v_mul_f64 v[112:113], v[136:137], v[6:7]
	s_waitcnt vmcnt(4)
	v_mul_f64 v[116:117], v[140:141], v[98:99]
	v_mul_f64 v[118:119], v[140:141], v[96:97]
	s_waitcnt vmcnt(0) lgkmcnt(4)
	v_mul_f64 v[120:121], v[146:147], v[10:11]
	s_clause 0x3
	buffer_load_dword v140, off, s[60:63], 0 offset:1152
	buffer_load_dword v141, off, s[60:63], 0 offset:1156
	;; [unrolled: 1-line block ×4, first 2 shown]
	ds_read_b128 v[76:79], v244 offset:24480
	ds_read_b128 v[80:83], v244 offset:25296
	v_mul_f64 v[114:115], v[136:137], v[4:5]
	v_fma_f64 v[104:105], v[122:123], v[84:85], v[104:105]
	v_fma_f64 v[106:107], v[122:123], v[86:87], -v[106:107]
	v_mul_f64 v[122:123], v[146:147], v[8:9]
	s_clause 0x3
	buffer_load_dword v146, off, s[60:63], 0 offset:1200
	buffer_load_dword v147, off, s[60:63], 0 offset:1204
	;; [unrolled: 1-line block ×4, first 2 shown]
	v_fma_f64 v[108:109], v[130:131], v[0:1], v[108:109]
	v_fma_f64 v[110:111], v[130:131], v[2:3], -v[110:111]
	v_fma_f64 v[112:113], v[134:135], v[4:5], v[112:113]
	v_fma_f64 v[116:117], v[138:139], v[96:97], v[116:117]
	v_fma_f64 v[118:119], v[138:139], v[98:99], -v[118:119]
	v_fma_f64 v[120:121], v[144:145], v[8:9], v[120:121]
	v_fma_f64 v[114:115], v[134:135], v[6:7], -v[114:115]
	v_fma_f64 v[122:123], v[144:145], v[10:11], -v[122:123]
	s_waitcnt vmcnt(4) lgkmcnt(4)
	v_mul_f64 v[124:125], v[142:143], v[102:103]
	v_mul_f64 v[126:127], v[142:143], v[100:101]
	s_waitcnt vmcnt(0)
	v_mul_f64 v[128:129], v[148:149], v[14:15]
	v_mul_f64 v[130:131], v[148:149], v[12:13]
	s_clause 0x3
	buffer_load_dword v148, off, s[60:63], 0 offset:1184
	buffer_load_dword v149, off, s[60:63], 0 offset:1188
	buffer_load_dword v150, off, s[60:63], 0 offset:1192
	buffer_load_dword v151, off, s[60:63], 0 offset:1196
	ds_read_b128 v[0:3], v244 offset:16320
	ds_read_b128 v[4:7], v244 offset:17136
	s_clause 0x3
	buffer_load_dword v152, off, s[60:63], 0 offset:1248
	buffer_load_dword v153, off, s[60:63], 0 offset:1252
	;; [unrolled: 1-line block ×4, first 2 shown]
	ds_read_b128 v[84:87], v244 offset:4896
	ds_read_b128 v[96:99], v244 offset:5712
	;; [unrolled: 1-line block ×3, first 2 shown]
	s_clause 0x7
	buffer_load_dword v158, off, s[60:63], 0 offset:1216
	buffer_load_dword v159, off, s[60:63], 0 offset:1220
	;; [unrolled: 1-line block ×8, first 2 shown]
	v_fma_f64 v[100:101], v[140:141], v[100:101], v[124:125]
	v_fma_f64 v[102:103], v[140:141], v[102:103], -v[126:127]
	v_add_f64 v[140:141], v[40:41], v[44:45]
	v_fma_f64 v[128:129], v[146:147], v[12:13], v[128:129]
	v_fma_f64 v[130:131], v[146:147], v[14:15], -v[130:131]
	s_waitcnt vmcnt(12) lgkmcnt(8)
	v_mul_f64 v[132:133], v[150:151], v[18:19]
	v_mul_f64 v[134:135], v[150:151], v[16:17]
	s_waitcnt vmcnt(8) lgkmcnt(7)
	v_mul_f64 v[136:137], v[154:155], v[22:23]
	v_mul_f64 v[138:139], v[154:155], v[20:21]
	;; [unrolled: 3-line block ×3, first 2 shown]
	s_clause 0x7
	buffer_load_dword v160, off, s[60:63], 0 offset:1232
	buffer_load_dword v161, off, s[60:63], 0 offset:1236
	;; [unrolled: 1-line block ×8, first 2 shown]
	s_waitcnt vmcnt(8) lgkmcnt(4)
	v_mul_f64 v[142:143], v[166:167], v[2:3]
	v_mul_f64 v[144:145], v[166:167], v[0:1]
	v_fma_f64 v[132:133], v[148:149], v[16:17], v[132:133]
	v_fma_f64 v[134:135], v[148:149], v[18:19], -v[134:135]
	ds_read_b128 v[12:15], v244 offset:6528
	ds_read_b128 v[16:19], v244 offset:7344
	s_clause 0x3
	buffer_load_dword v166, off, s[60:63], 0 offset:1280
	buffer_load_dword v167, off, s[60:63], 0 offset:1284
	;; [unrolled: 1-line block ×4, first 2 shown]
	v_fma_f64 v[136:137], v[152:153], v[20:21], v[136:137]
	v_fma_f64 v[138:139], v[152:153], v[22:23], -v[138:139]
	v_add_f64 v[152:153], v[48:49], v[52:53]
	v_add_f64 v[148:149], v[42:43], v[46:47]
	v_fma_f64 v[124:125], v[158:159], v[76:77], v[124:125]
	v_add_f64 v[76:77], v[24:25], v[40:41]
	v_fma_f64 v[126:127], v[158:159], v[78:79], -v[126:127]
	v_fma_f64 v[24:25], v[140:141], -0.5, v[24:25]
	v_add_f64 v[140:141], v[42:43], -v[46:47]
	v_add_f64 v[78:79], v[50:51], v[54:55]
	v_fma_f64 v[142:143], v[164:165], v[0:1], v[142:143]
	v_fma_f64 v[144:145], v[164:165], v[2:3], -v[144:145]
	v_add_f64 v[2:3], v[26:27], v[42:43]
	v_add_f64 v[42:43], v[56:57], v[60:61]
	v_add_f64 v[40:41], v[40:41], -v[44:45]
	v_fma_f64 v[26:27], v[148:149], -0.5, v[26:27]
	v_add_f64 v[0:1], v[76:77], v[44:45]
	v_add_f64 v[44:45], v[30:31], v[50:51]
	v_add_f64 v[76:77], v[58:59], -v[62:63]
	v_fma_f64 v[30:31], v[78:79], -0.5, v[30:31]
	v_add_f64 v[2:3], v[2:3], v[46:47]
	v_add_f64 v[46:47], v[66:67], v[70:71]
	v_fma_f64 v[42:43], v[42:43], -0.5, v[32:33]
	s_waitcnt vmcnt(8)
	v_mul_f64 v[146:147], v[162:163], v[82:83]
	s_waitcnt vmcnt(4) lgkmcnt(5)
	v_mul_f64 v[22:23], v[172:173], v[4:5]
	v_mul_f64 v[20:21], v[162:163], v[80:81]
	;; [unrolled: 1-line block ×3, first 2 shown]
	s_waitcnt vmcnt(0) lgkmcnt(2)
	v_mul_f64 v[154:155], v[168:169], v[10:11]
	v_mul_f64 v[156:157], v[168:169], v[8:9]
	v_fma_f64 v[146:147], v[160:161], v[80:81], v[146:147]
	v_fma_f64 v[158:159], v[170:171], v[6:7], -v[22:23]
	v_add_f64 v[22:23], v[28:29], v[48:49]
	v_fma_f64 v[28:29], v[152:153], -0.5, v[28:29]
	v_add_f64 v[80:81], v[50:51], -v[54:55]
	v_fma_f64 v[148:149], v[160:161], v[82:83], -v[20:21]
	v_fma_f64 v[150:151], v[170:171], v[4:5], v[150:151]
	v_add_f64 v[20:21], v[58:59], v[62:63]
	v_add_f64 v[82:83], v[64:65], v[68:69]
	v_fma_f64 v[4:5], v[140:141], s[0:1], v[24:25]
	v_add_f64 v[50:51], v[32:33], v[56:57]
	v_add_f64 v[58:59], v[34:35], v[58:59]
	v_add_f64 v[48:49], v[48:49], -v[52:53]
	v_add_f64 v[56:57], v[56:57], -v[60:61]
	v_fma_f64 v[6:7], v[40:41], s[2:3], v[26:27]
	v_add_f64 v[160:161], v[136:137], v[124:125]
	v_fma_f64 v[152:153], v[166:167], v[8:9], v[154:155]
	v_fma_f64 v[8:9], v[140:141], s[2:3], v[24:25]
	v_fma_f64 v[154:155], v[166:167], v[10:11], -v[156:157]
	v_add_f64 v[140:141], v[66:67], -v[70:71]
	v_add_f64 v[66:67], v[38:39], v[66:67]
	v_add_f64 v[156:157], v[114:115], v[118:119]
	v_fma_f64 v[10:11], v[40:41], s[0:1], v[26:27]
	v_fma_f64 v[40:41], v[76:77], s[2:3], v[42:43]
	;; [unrolled: 1-line block ×4, first 2 shown]
	v_add_f64 v[80:81], v[36:37], v[64:65]
	v_fma_f64 v[78:79], v[20:21], -0.5, v[34:35]
	v_add_f64 v[20:21], v[22:23], v[52:53]
	v_add_f64 v[52:53], v[104:105], v[108:109]
	v_fma_f64 v[82:83], v[82:83], -0.5, v[36:37]
	v_add_f64 v[22:23], v[44:45], v[54:55]
	v_add_f64 v[54:55], v[106:107], v[110:111]
	;; [unrolled: 1-line block ×4, first 2 shown]
	v_add_f64 v[64:65], v[64:65], -v[68:69]
	v_add_f64 v[34:35], v[58:59], v[62:63]
	v_add_f64 v[58:59], v[88:89], v[104:105]
	;; [unrolled: 1-line block ×3, first 2 shown]
	v_fma_f64 v[26:27], v[48:49], s[2:3], v[30:31]
	v_fma_f64 v[30:31], v[48:49], s[0:1], v[30:31]
	v_fma_f64 v[60:61], v[46:47], -0.5, v[38:39]
	v_fma_f64 v[36:37], v[76:77], s[0:1], v[42:43]
	v_add_f64 v[46:47], v[66:67], v[70:71]
	v_add_f64 v[70:71], v[92:93], v[112:113]
	v_add_f64 v[164:165], v[158:159], -v[154:155]
	v_add_f64 v[44:45], v[80:81], v[68:69]
	v_add_f64 v[68:69], v[90:91], v[106:107]
	v_fma_f64 v[38:39], v[56:57], s[2:3], v[78:79]
	v_fma_f64 v[76:77], v[52:53], -0.5, v[88:89]
	v_add_f64 v[88:89], v[106:107], -v[110:111]
	v_fma_f64 v[42:43], v[56:57], s[0:1], v[78:79]
	v_add_f64 v[78:79], v[122:123], v[102:103]
	v_fma_f64 v[48:49], v[140:141], s[0:1], v[82:83]
	v_fma_f64 v[80:81], v[54:55], -0.5, v[90:91]
	v_add_f64 v[90:91], v[104:105], -v[108:109]
	v_fma_f64 v[52:53], v[140:141], s[2:3], v[82:83]
	v_fma_f64 v[82:83], v[50:51], -0.5, v[92:93]
	v_add_f64 v[92:93], v[114:115], -v[118:119]
	v_add_f64 v[104:105], v[94:95], v[114:115]
	v_fma_f64 v[94:95], v[156:157], -0.5, v[94:95]
	v_add_f64 v[106:107], v[112:113], -v[116:117]
	v_add_f64 v[56:57], v[58:59], v[108:109]
	v_add_f64 v[108:109], v[84:85], v[120:121]
	v_add_f64 v[114:115], v[122:123], -v[102:103]
	v_add_f64 v[122:123], v[86:87], v[122:123]
	v_fma_f64 v[112:113], v[62:63], -0.5, v[84:85]
	v_fma_f64 v[50:51], v[64:65], s[2:3], v[60:61]
	v_fma_f64 v[54:55], v[64:65], s[0:1], v[60:61]
	v_add_f64 v[58:59], v[68:69], v[110:111]
	v_add_f64 v[110:111], v[96:97], v[128:129]
	v_add_f64 v[120:121], v[120:121], -v[100:101]
	v_fma_f64 v[60:61], v[88:89], s[0:1], v[76:77]
	v_fma_f64 v[64:65], v[88:89], s[2:3], v[76:77]
	v_fma_f64 v[140:141], v[78:79], -0.5, v[86:87]
	v_add_f64 v[156:157], v[128:129], v[132:133]
	v_add_f64 v[68:69], v[70:71], v[116:117]
	v_fma_f64 v[62:63], v[90:91], s[2:3], v[80:81]
	v_fma_f64 v[66:67], v[90:91], s[0:1], v[80:81]
	v_add_f64 v[116:117], v[130:131], v[134:135]
	v_fma_f64 v[76:77], v[92:93], s[0:1], v[82:83]
	v_fma_f64 v[80:81], v[92:93], s[2:3], v[82:83]
	v_add_f64 v[70:71], v[104:105], v[118:119]
	v_fma_f64 v[78:79], v[106:107], s[2:3], v[94:95]
	v_add_f64 v[104:105], v[138:139], v[126:127]
	;; [unrolled: 2-line block ×3, first 2 shown]
	v_add_f64 v[106:107], v[142:143], v[146:147]
	v_add_f64 v[108:109], v[144:145], v[148:149]
	;; [unrolled: 1-line block ×4, first 2 shown]
	v_fma_f64 v[88:89], v[114:115], s[0:1], v[112:113]
	v_add_f64 v[100:101], v[110:111], v[132:133]
	v_add_f64 v[110:111], v[158:159], v[154:155]
	v_fma_f64 v[92:93], v[114:115], s[2:3], v[112:113]
	v_add_f64 v[114:115], v[98:99], v[130:131]
	v_fma_f64 v[90:91], v[120:121], s[2:3], v[140:141]
	v_fma_f64 v[94:95], v[120:121], s[0:1], v[140:141]
	v_fma_f64 v[96:97], v[156:157], -0.5, v[96:97]
	v_add_f64 v[112:113], v[130:131], -v[134:135]
	s_waitcnt lgkmcnt(1)
	v_add_f64 v[118:119], v[12:13], v[136:137]
	v_fma_f64 v[98:99], v[116:117], -0.5, v[98:99]
	v_add_f64 v[116:117], v[128:129], -v[132:133]
	v_fma_f64 v[120:121], v[160:161], -0.5, v[12:13]
	v_add_f64 v[122:123], v[138:139], -v[126:127]
	v_add_f64 v[128:129], v[14:15], v[138:139]
	v_fma_f64 v[130:131], v[104:105], -0.5, v[14:15]
	v_add_f64 v[132:133], v[136:137], -v[124:125]
	s_waitcnt lgkmcnt(0)
	v_add_f64 v[136:137], v[16:17], v[142:143]
	v_fma_f64 v[138:139], v[106:107], -0.5, v[16:17]
	v_add_f64 v[140:141], v[144:145], -v[148:149]
	v_add_f64 v[144:145], v[18:19], v[144:145]
	v_fma_f64 v[156:157], v[108:109], -0.5, v[18:19]
	v_add_f64 v[142:143], v[142:143], -v[146:147]
	v_add_f64 v[160:161], v[72:73], v[150:151]
	v_fma_f64 v[162:163], v[102:103], -0.5, v[72:73]
	v_add_f64 v[158:159], v[74:75], v[158:159]
	v_fma_f64 v[166:167], v[110:111], -0.5, v[74:75]
	v_add_f64 v[150:151], v[150:151], -v[152:153]
	v_add_f64 v[102:103], v[114:115], v[134:135]
	v_fma_f64 v[12:13], v[112:113], s[0:1], v[96:97]
	v_fma_f64 v[16:17], v[112:113], s[2:3], v[96:97]
	v_add_f64 v[72:73], v[118:119], v[124:125]
	v_fma_f64 v[14:15], v[116:117], s[2:3], v[98:99]
	v_fma_f64 v[18:19], v[116:117], s[0:1], v[98:99]
	;; [unrolled: 1-line block ×4, first 2 shown]
	v_add_f64 v[74:75], v[128:129], v[126:127]
	v_fma_f64 v[98:99], v[132:133], s[2:3], v[130:131]
	v_fma_f64 v[106:107], v[132:133], s[0:1], v[130:131]
	v_add_f64 v[108:109], v[136:137], v[146:147]
	v_fma_f64 v[112:113], v[140:141], s[0:1], v[138:139]
	v_fma_f64 v[116:117], v[140:141], s[2:3], v[138:139]
	;; [unrolled: 3-line block ×5, first 2 shown]
	ds_write_b128 v244, v[0:3]
	ds_write_b128 v244, v[4:7] offset:8976
	ds_write_b128 v244, v[8:11] offset:17952
	;; [unrolled: 1-line block ×32, first 2 shown]
	s_waitcnt lgkmcnt(0)
	s_barrier
	buffer_gl0_inv
	ds_read_b128 v[0:3], v244
	ds_read_b128 v[4:7], v244 offset:1584
	s_clause 0x5
	buffer_load_dword v20, off, s[60:63], 0 offset:196
	buffer_load_dword v21, off, s[60:63], 0 offset:200
	;; [unrolled: 1-line block ×6, first 2 shown]
	v_mad_u64_u32 v[32:33], null, s8, v255, 0
	s_mov_b32 s2, 0x87d568ce
	s_mov_b32 s3, 0x3f437851
	s_mul_hi_u32 s1, s8, 0x63
	s_waitcnt vmcnt(2) lgkmcnt(1)
	v_mul_f64 v[12:13], v[22:23], v[2:3]
	s_waitcnt vmcnt(1)
	v_mov_b32_e32 v17, v8
	s_waitcnt vmcnt(0)
	ds_read_b128 v[8:11], v244 offset:3168
	s_clause 0x3
	buffer_load_dword v40, off, s[60:63], 0 offset:124
	buffer_load_dword v41, off, s[60:63], 0 offset:128
	;; [unrolled: 1-line block ×4, first 2 shown]
	v_mul_f64 v[14:15], v[22:23], v[0:1]
	v_mad_u64_u32 v[18:19], null, s10, v17, 0
	v_mov_b32_e32 v16, v19
	v_mad_u64_u32 v[16:17], null, s11, v17, v[16:17]
	v_mov_b32_e32 v17, v33
	v_fma_f64 v[0:1], v[20:21], v[0:1], v[12:13]
	v_fma_f64 v[2:3], v[20:21], v[2:3], -v[14:15]
	ds_read_b128 v[12:15], v244 offset:4752
	v_mad_u64_u32 v[26:27], null, s9, v255, v[17:18]
	v_mov_b32_e32 v19, v16
	v_mov_b32_e32 v33, v26
	v_mul_f64 v[16:17], v[0:1], s[2:3]
	v_lshlrev_b64 v[0:1], 4, v[18:19]
	v_mul_f64 v[18:19], v[2:3], s[2:3]
	v_add_co_u32 v2, s0, s14, v0
	v_add_co_ci_u32_e64 v3, s0, s15, v1, s0
	s_waitcnt vmcnt(0) lgkmcnt(2)
	v_mul_f64 v[24:25], v[42:43], v[6:7]
	v_mul_f64 v[34:35], v[42:43], v[4:5]
	s_clause 0x3
	buffer_load_dword v42, off, s[60:63], 0 offset:388
	buffer_load_dword v43, off, s[60:63], 0 offset:392
	buffer_load_dword v44, off, s[60:63], 0 offset:396
	buffer_load_dword v45, off, s[60:63], 0 offset:400
	ds_read_b128 v[20:23], v244 offset:6336
	ds_read_b128 v[28:31], v244 offset:9504
	v_fma_f64 v[4:5], v[40:41], v[4:5], v[24:25]
	ds_read_b128 v[24:27], v244 offset:7920
	s_clause 0x7
	buffer_load_dword v64, off, s[60:63], 0 offset:372
	buffer_load_dword v65, off, s[60:63], 0 offset:376
	;; [unrolled: 1-line block ×8, first 2 shown]
	v_fma_f64 v[0:1], v[40:41], v[6:7], -v[34:35]
	v_lshlrev_b64 v[6:7], 4, v[32:33]
	s_clause 0x3
	buffer_load_dword v54, off, s[60:63], 0 offset:324
	buffer_load_dword v55, off, s[60:63], 0 offset:328
	;; [unrolled: 1-line block ×4, first 2 shown]
	v_add_co_u32 v40, s0, v2, v6
	v_add_co_ci_u32_e64 v41, s0, v3, v7, s0
	s_mul_i32 s0, s9, 0x63
	s_add_i32 s1, s1, s0
	s_mul_i32 s0, s8, 0x63
	s_lshl_b64 s[4:5], s[0:1], 4
	v_mul_f64 v[4:5], v[4:5], s[2:3]
	v_mul_f64 v[6:7], v[0:1], s[2:3]
	s_waitcnt vmcnt(12) lgkmcnt(4)
	v_mul_f64 v[36:37], v[44:45], v[10:11]
	v_mul_f64 v[38:39], v[44:45], v[8:9]
	v_fma_f64 v[32:33], v[42:43], v[8:9], v[36:37]
	v_fma_f64 v[34:35], v[42:43], v[10:11], -v[38:39]
	s_waitcnt vmcnt(4) lgkmcnt(2)
	v_mul_f64 v[42:43], v[60:61], v[22:23]
	v_mul_f64 v[44:45], v[60:61], v[20:21]
	ds_read_b128 v[8:11], v244 offset:11088
	s_clause 0x3
	buffer_load_dword v60, off, s[60:63], 0 offset:356
	buffer_load_dword v61, off, s[60:63], 0 offset:360
	;; [unrolled: 1-line block ×4, first 2 shown]
	v_mul_f64 v[36:37], v[66:67], v[14:15]
	v_mul_f64 v[38:39], v[66:67], v[12:13]
	s_waitcnt vmcnt(4) lgkmcnt(1)
	v_mul_f64 v[46:47], v[56:57], v[26:27]
	v_mul_f64 v[48:49], v[56:57], v[24:25]
	;; [unrolled: 1-line block ×4, first 2 shown]
	v_fma_f64 v[20:21], v[58:59], v[20:21], v[42:43]
	v_fma_f64 v[22:23], v[58:59], v[22:23], -v[44:45]
	v_fma_f64 v[0:1], v[64:65], v[12:13], v[36:37]
	v_fma_f64 v[36:37], v[64:65], v[14:15], -v[38:39]
	ds_read_b128 v[12:15], v244 offset:12672
	v_fma_f64 v[24:25], v[54:55], v[24:25], v[46:47]
	v_fma_f64 v[26:27], v[54:55], v[26:27], -v[48:49]
	v_add_co_u32 v38, s0, v40, s4
	v_add_co_ci_u32_e64 v39, s0, s5, v41, s0
	v_add_co_u32 v42, s0, v38, s4
	v_add_co_ci_u32_e64 v43, s0, s5, v39, s0
	v_mul_f64 v[20:21], v[20:21], s[2:3]
	v_mul_f64 v[22:23], v[22:23], s[2:3]
	;; [unrolled: 1-line block ×4, first 2 shown]
	s_waitcnt vmcnt(0)
	v_mul_f64 v[52:53], v[62:63], v[28:29]
	v_mul_f64 v[50:51], v[62:63], v[30:31]
	v_fma_f64 v[30:31], v[60:61], v[30:31], -v[52:53]
	s_clause 0x3
	buffer_load_dword v52, off, s[60:63], 0 offset:308
	buffer_load_dword v53, off, s[60:63], 0 offset:312
	;; [unrolled: 1-line block ×4, first 2 shown]
	global_store_dwordx4 v[40:41], v[16:19], off
	global_store_dwordx4 v[38:39], v[4:7], off
	;; [unrolled: 1-line block ×3, first 2 shown]
	v_fma_f64 v[28:29], v[60:61], v[28:29], v[50:51]
	ds_read_b128 v[16:19], v244 offset:14256
	s_clause 0x3
	buffer_load_dword v48, off, s[60:63], 0 offset:292
	buffer_load_dword v49, off, s[60:63], 0 offset:296
	;; [unrolled: 1-line block ×4, first 2 shown]
	v_mul_f64 v[6:7], v[36:37], s[2:3]
	v_mul_f64 v[4:5], v[0:1], s[2:3]
	v_add_co_u32 v32, s0, v42, s4
	v_add_co_ci_u32_e64 v33, s0, s5, v43, s0
	v_add_co_u32 v40, s0, v32, s4
	v_add_co_ci_u32_e64 v41, s0, s5, v33, s0
	;; [unrolled: 2-line block ×3, first 2 shown]
	v_mul_f64 v[30:31], v[30:31], s[2:3]
	v_mul_f64 v[28:29], v[28:29], s[2:3]
	s_waitcnt vmcnt(4) lgkmcnt(2)
	v_mul_f64 v[44:45], v[54:55], v[10:11]
	v_mul_f64 v[46:47], v[54:55], v[8:9]
	s_waitcnt vmcnt(0) lgkmcnt(1)
	v_mul_f64 v[0:1], v[50:51], v[14:15]
	v_mul_f64 v[34:35], v[50:51], v[12:13]
	v_fma_f64 v[36:37], v[52:53], v[8:9], v[44:45]
	v_fma_f64 v[38:39], v[52:53], v[10:11], -v[46:47]
	ds_read_b128 v[8:11], v244 offset:15840
	s_clause 0x3
	buffer_load_dword v56, off, s[60:63], 0 offset:180
	buffer_load_dword v57, off, s[60:63], 0 offset:184
	;; [unrolled: 1-line block ×4, first 2 shown]
	v_add_co_u32 v44, s0, v42, s4
	v_add_co_ci_u32_e64 v45, s0, s5, v43, s0
	global_store_dwordx4 v[32:33], v[4:7], off
	global_store_dwordx4 v[40:41], v[20:23], off
	ds_read_b128 v[4:7], v244 offset:17424
	global_store_dwordx4 v[42:43], v[24:27], off
	global_store_dwordx4 v[44:45], v[28:31], off
	v_fma_f64 v[0:1], v[48:49], v[12:13], v[0:1]
	v_fma_f64 v[46:47], v[48:49], v[14:15], -v[34:35]
	v_add_co_u32 v44, s0, v44, s4
	v_add_co_ci_u32_e64 v45, s0, s5, v45, s0
	v_mul_f64 v[12:13], v[36:37], s[2:3]
	v_mul_f64 v[14:15], v[38:39], s[2:3]
	;; [unrolled: 1-line block ×4, first 2 shown]
	s_waitcnt vmcnt(0) lgkmcnt(2)
	v_mul_f64 v[48:49], v[58:59], v[18:19]
	v_mul_f64 v[50:51], v[58:59], v[16:17]
	s_clause 0x3
	buffer_load_dword v58, off, s[60:63], 0 offset:164
	buffer_load_dword v59, off, s[60:63], 0 offset:168
	;; [unrolled: 1-line block ×4, first 2 shown]
	ds_read_b128 v[20:23], v244 offset:19008
	ds_read_b128 v[24:27], v244 offset:20592
	;; [unrolled: 1-line block ×5, first 2 shown]
	s_clause 0x7
	buffer_load_dword v74, off, s[60:63], 0 offset:148
	buffer_load_dword v75, off, s[60:63], 0 offset:152
	;; [unrolled: 1-line block ×8, first 2 shown]
	v_fma_f64 v[0:1], v[56:57], v[16:17], v[48:49]
	v_fma_f64 v[16:17], v[56:57], v[18:19], -v[50:51]
	v_add_co_u32 v48, s0, v44, s4
	v_add_co_ci_u32_e64 v49, s0, s5, v45, s0
	s_waitcnt vmcnt(8) lgkmcnt(6)
	v_mul_f64 v[52:53], v[60:61], v[10:11]
	v_mul_f64 v[54:55], v[60:61], v[8:9]
	s_waitcnt vmcnt(4) lgkmcnt(5)
	v_mul_f64 v[18:19], v[76:77], v[6:7]
	v_mul_f64 v[46:47], v[76:77], v[4:5]
	;; [unrolled: 3-line block ×3, first 2 shown]
	s_clause 0x7
	buffer_load_dword v76, off, s[60:63], 0 offset:212
	buffer_load_dword v77, off, s[60:63], 0 offset:216
	;; [unrolled: 1-line block ×8, first 2 shown]
	v_fma_f64 v[52:53], v[58:59], v[8:9], v[52:53]
	v_fma_f64 v[54:55], v[58:59], v[10:11], -v[54:55]
	v_mul_f64 v[8:9], v[0:1], s[2:3]
	v_mul_f64 v[10:11], v[16:17], s[2:3]
	v_fma_f64 v[0:1], v[74:75], v[4:5], v[18:19]
	v_fma_f64 v[16:17], v[80:81], v[20:21], v[50:51]
	v_fma_f64 v[18:19], v[80:81], v[22:23], -v[56:57]
	v_mul_f64 v[4:5], v[52:53], s[2:3]
	v_mul_f64 v[16:17], v[16:17], s[2:3]
	;; [unrolled: 1-line block ×3, first 2 shown]
	s_waitcnt vmcnt(4) lgkmcnt(3)
	v_mul_f64 v[58:59], v[78:79], v[26:27]
	s_waitcnt vmcnt(0) lgkmcnt(2)
	v_mul_f64 v[62:63], v[84:85], v[30:31]
	v_mul_f64 v[64:65], v[84:85], v[28:29]
	s_clause 0x3
	buffer_load_dword v84, off, s[60:63], 0 offset:260
	buffer_load_dword v85, off, s[60:63], 0 offset:264
	;; [unrolled: 1-line block ×4, first 2 shown]
	v_mul_f64 v[60:61], v[78:79], v[24:25]
	v_fma_f64 v[20:21], v[76:77], v[24:25], v[58:59]
	v_fma_f64 v[24:25], v[82:83], v[28:29], v[62:63]
	v_fma_f64 v[22:23], v[76:77], v[26:27], -v[60:61]
	v_fma_f64 v[26:27], v[82:83], v[30:31], -v[64:65]
	v_mul_f64 v[20:21], v[20:21], s[2:3]
	v_mul_f64 v[24:25], v[24:25], s[2:3]
	;; [unrolled: 1-line block ×4, first 2 shown]
	s_waitcnt vmcnt(0) lgkmcnt(1)
	v_mul_f64 v[66:67], v[86:87], v[34:35]
	v_mul_f64 v[68:69], v[86:87], v[32:33]
	s_clause 0x3
	buffer_load_dword v86, off, s[60:63], 0 offset:276
	buffer_load_dword v87, off, s[60:63], 0 offset:280
	;; [unrolled: 1-line block ×4, first 2 shown]
	global_store_dwordx4 v[44:45], v[12:15], off
	global_store_dwordx4 v[48:49], v[36:39], off
	v_fma_f64 v[14:15], v[74:75], v[6:7], -v[46:47]
	v_add_co_u32 v36, s0, v48, s4
	v_add_co_ci_u32_e64 v37, s0, s5, v49, s0
	v_mul_f64 v[6:7], v[54:55], s[2:3]
	v_add_co_u32 v38, s0, v36, s4
	v_add_co_ci_u32_e64 v39, s0, s5, v37, s0
	v_mul_f64 v[12:13], v[0:1], s[2:3]
	v_add_co_u32 v0, s0, v38, s4
	v_add_co_ci_u32_e64 v1, s0, s5, v39, s0
	global_store_dwordx4 v[36:37], v[8:11], off
	v_fma_f64 v[28:29], v[84:85], v[32:33], v[66:67]
	v_fma_f64 v[30:31], v[84:85], v[34:35], -v[68:69]
	v_mul_f64 v[14:15], v[14:15], s[2:3]
	global_store_dwordx4 v[38:39], v[4:7], off
	v_mul_f64 v[28:29], v[28:29], s[2:3]
	v_mul_f64 v[30:31], v[30:31], s[2:3]
	global_store_dwordx4 v[0:1], v[12:15], off
	s_waitcnt vmcnt(0) lgkmcnt(0)
	v_mul_f64 v[70:71], v[88:89], v[42:43]
	v_mul_f64 v[72:73], v[88:89], v[40:41]
	v_fma_f64 v[32:33], v[86:87], v[40:41], v[70:71]
	v_fma_f64 v[34:35], v[86:87], v[42:43], -v[72:73]
	v_add_co_u32 v40, s0, v0, s4
	v_add_co_ci_u32_e64 v41, s0, s5, v1, s0
	v_add_co_u32 v42, s0, v40, s4
	v_add_co_ci_u32_e64 v43, s0, s5, v41, s0
	;; [unrolled: 2-line block ×4, first 2 shown]
	v_mul_f64 v[32:33], v[32:33], s[2:3]
	v_mul_f64 v[34:35], v[34:35], s[2:3]
	v_add_co_u32 v0, s0, v4, s4
	v_add_co_ci_u32_e64 v1, s0, s5, v5, s0
	global_store_dwordx4 v[40:41], v[16:19], off
	global_store_dwordx4 v[42:43], v[20:23], off
	;; [unrolled: 1-line block ×5, first 2 shown]
	s_and_b32 exec_lo, exec_lo, vcc_lo
	s_cbranch_execz .LBB0_15
; %bb.14:
	s_clause 0x1
	buffer_load_dword v4, off, s[60:63], 0 offset:92
	buffer_load_dword v5, off, s[60:63], 0 offset:96
	v_mad_u64_u32 v[0:1], null, 0xffffa030, s8, v[0:1]
	s_mul_i32 s0, s9, 0xffffa030
	s_sub_i32 s0, s0, s8
	v_add_nc_u32_e32 v1, s0, v1
	s_waitcnt vmcnt(0)
	global_load_dwordx4 v[4:7], v[4:5], off offset:816
	ds_read_b128 v[8:11], v244 offset:816
	ds_read_b128 v[12:15], v244 offset:2400
	s_waitcnt vmcnt(0) lgkmcnt(1)
	v_mul_f64 v[16:17], v[10:11], v[6:7]
	v_mul_f64 v[6:7], v[8:9], v[6:7]
	v_fma_f64 v[8:9], v[8:9], v[4:5], v[16:17]
	v_fma_f64 v[6:7], v[4:5], v[10:11], -v[6:7]
	v_mul_f64 v[4:5], v[8:9], s[2:3]
	v_mul_f64 v[6:7], v[6:7], s[2:3]
	global_store_dwordx4 v[0:1], v[4:7], off
	s_clause 0x1
	buffer_load_dword v10, off, s[60:63], 0 offset:100
	buffer_load_dword v11, off, s[60:63], 0 offset:104
	v_add_co_u32 v0, vcc_lo, v0, s4
	v_add_co_ci_u32_e32 v1, vcc_lo, s5, v1, vcc_lo
	s_waitcnt vmcnt(0)
	global_load_dwordx4 v[4:7], v[10:11], off offset:352
	s_waitcnt vmcnt(0) lgkmcnt(0)
	v_mul_f64 v[8:9], v[14:15], v[6:7]
	v_mul_f64 v[6:7], v[12:13], v[6:7]
	v_fma_f64 v[8:9], v[12:13], v[4:5], v[8:9]
	v_fma_f64 v[6:7], v[4:5], v[14:15], -v[6:7]
	v_mul_f64 v[4:5], v[8:9], s[2:3]
	v_mul_f64 v[6:7], v[6:7], s[2:3]
	global_store_dwordx4 v[0:1], v[4:7], off
	global_load_dwordx4 v[4:7], v[10:11], off offset:1936
	ds_read_b128 v[8:11], v244 offset:3984
	ds_read_b128 v[12:15], v244 offset:5568
	v_add_co_u32 v0, vcc_lo, v0, s4
	v_add_co_ci_u32_e32 v1, vcc_lo, s5, v1, vcc_lo
	s_waitcnt vmcnt(0) lgkmcnt(1)
	v_mul_f64 v[16:17], v[10:11], v[6:7]
	v_mul_f64 v[6:7], v[8:9], v[6:7]
	v_fma_f64 v[8:9], v[8:9], v[4:5], v[16:17]
	v_fma_f64 v[6:7], v[4:5], v[10:11], -v[6:7]
	v_mul_f64 v[4:5], v[8:9], s[2:3]
	v_mul_f64 v[6:7], v[6:7], s[2:3]
	global_store_dwordx4 v[0:1], v[4:7], off
	s_clause 0x1
	buffer_load_dword v4, off, s[60:63], 0 offset:84
	buffer_load_dword v5, off, s[60:63], 0 offset:88
	v_add_co_u32 v0, vcc_lo, v0, s4
	v_add_co_ci_u32_e32 v1, vcc_lo, s5, v1, vcc_lo
	s_waitcnt vmcnt(0)
	global_load_dwordx4 v[4:7], v[4:5], off offset:1472
	s_waitcnt vmcnt(0) lgkmcnt(0)
	v_mul_f64 v[8:9], v[14:15], v[6:7]
	v_mul_f64 v[6:7], v[12:13], v[6:7]
	v_fma_f64 v[8:9], v[12:13], v[4:5], v[8:9]
	v_fma_f64 v[6:7], v[4:5], v[14:15], -v[6:7]
	v_mul_f64 v[4:5], v[8:9], s[2:3]
	v_mul_f64 v[6:7], v[6:7], s[2:3]
	global_store_dwordx4 v[0:1], v[4:7], off
	s_clause 0x1
	buffer_load_dword v4, off, s[60:63], 0 offset:76
	buffer_load_dword v5, off, s[60:63], 0 offset:80
	v_add_co_u32 v0, vcc_lo, v0, s4
	v_add_co_ci_u32_e32 v1, vcc_lo, s5, v1, vcc_lo
	s_waitcnt vmcnt(0)
	global_load_dwordx4 v[4:7], v[4:5], off offset:1008
	ds_read_b128 v[8:11], v244 offset:7152
	ds_read_b128 v[12:15], v244 offset:8736
	s_waitcnt vmcnt(0) lgkmcnt(1)
	v_mul_f64 v[16:17], v[10:11], v[6:7]
	v_mul_f64 v[6:7], v[8:9], v[6:7]
	v_fma_f64 v[8:9], v[8:9], v[4:5], v[16:17]
	v_fma_f64 v[6:7], v[4:5], v[10:11], -v[6:7]
	v_mul_f64 v[4:5], v[8:9], s[2:3]
	v_mul_f64 v[6:7], v[6:7], s[2:3]
	global_store_dwordx4 v[0:1], v[4:7], off
	s_clause 0x1
	buffer_load_dword v4, off, s[60:63], 0 offset:116
	buffer_load_dword v5, off, s[60:63], 0 offset:120
	v_add_co_u32 v0, vcc_lo, v0, s4
	v_add_co_ci_u32_e32 v1, vcc_lo, s5, v1, vcc_lo
	s_waitcnt vmcnt(0)
	global_load_dwordx4 v[4:7], v[4:5], off offset:544
	s_waitcnt vmcnt(0) lgkmcnt(0)
	v_mul_f64 v[8:9], v[14:15], v[6:7]
	v_mul_f64 v[6:7], v[12:13], v[6:7]
	v_fma_f64 v[8:9], v[12:13], v[4:5], v[8:9]
	v_fma_f64 v[6:7], v[4:5], v[14:15], -v[6:7]
	v_mul_f64 v[4:5], v[8:9], s[2:3]
	v_mul_f64 v[6:7], v[6:7], s[2:3]
	global_store_dwordx4 v[0:1], v[4:7], off
	s_clause 0x1
	buffer_load_dword v18, off, s[60:63], 0 offset:44
	buffer_load_dword v19, off, s[60:63], 0 offset:48
	v_add_co_u32 v0, vcc_lo, v0, s4
	v_add_co_ci_u32_e32 v1, vcc_lo, s5, v1, vcc_lo
	s_waitcnt vmcnt(0)
	global_load_dwordx4 v[4:7], v[18:19], off offset:80
	ds_read_b128 v[8:11], v244 offset:10320
	ds_read_b128 v[12:15], v244 offset:11904
	s_waitcnt vmcnt(0) lgkmcnt(1)
	v_mul_f64 v[16:17], v[10:11], v[6:7]
	v_mul_f64 v[6:7], v[8:9], v[6:7]
	v_fma_f64 v[8:9], v[8:9], v[4:5], v[16:17]
	v_fma_f64 v[6:7], v[4:5], v[10:11], -v[6:7]
	v_mul_f64 v[4:5], v[8:9], s[2:3]
	v_mul_f64 v[6:7], v[6:7], s[2:3]
	global_store_dwordx4 v[0:1], v[4:7], off
	global_load_dwordx4 v[4:7], v[18:19], off offset:1664
	v_add_co_u32 v0, vcc_lo, v0, s4
	v_add_co_ci_u32_e32 v1, vcc_lo, s5, v1, vcc_lo
	s_waitcnt vmcnt(0) lgkmcnt(0)
	v_mul_f64 v[8:9], v[14:15], v[6:7]
	v_mul_f64 v[6:7], v[12:13], v[6:7]
	v_fma_f64 v[8:9], v[12:13], v[4:5], v[8:9]
	v_fma_f64 v[6:7], v[4:5], v[14:15], -v[6:7]
	v_mul_f64 v[4:5], v[8:9], s[2:3]
	v_mul_f64 v[6:7], v[6:7], s[2:3]
	global_store_dwordx4 v[0:1], v[4:7], off
	s_clause 0x1
	buffer_load_dword v4, off, s[60:63], 0 offset:36
	buffer_load_dword v5, off, s[60:63], 0 offset:40
	v_add_co_u32 v0, vcc_lo, v0, s4
	v_add_co_ci_u32_e32 v1, vcc_lo, s5, v1, vcc_lo
	s_waitcnt vmcnt(0)
	global_load_dwordx4 v[4:7], v[4:5], off offset:1200
	ds_read_b128 v[8:11], v244 offset:13488
	ds_read_b128 v[12:15], v244 offset:15072
	s_waitcnt vmcnt(0) lgkmcnt(1)
	v_mul_f64 v[16:17], v[10:11], v[6:7]
	v_mul_f64 v[6:7], v[8:9], v[6:7]
	v_fma_f64 v[8:9], v[8:9], v[4:5], v[16:17]
	v_fma_f64 v[6:7], v[4:5], v[10:11], -v[6:7]
	v_mul_f64 v[4:5], v[8:9], s[2:3]
	v_mul_f64 v[6:7], v[6:7], s[2:3]
	global_store_dwordx4 v[0:1], v[4:7], off
	s_clause 0x1
	buffer_load_dword v4, off, s[60:63], 0 offset:60
	buffer_load_dword v5, off, s[60:63], 0 offset:64
	v_add_co_u32 v0, vcc_lo, v0, s4
	v_add_co_ci_u32_e32 v1, vcc_lo, s5, v1, vcc_lo
	s_waitcnt vmcnt(0)
	global_load_dwordx4 v[4:7], v[4:5], off offset:736
	s_waitcnt vmcnt(0) lgkmcnt(0)
	v_mul_f64 v[8:9], v[14:15], v[6:7]
	v_mul_f64 v[6:7], v[12:13], v[6:7]
	v_fma_f64 v[8:9], v[12:13], v[4:5], v[8:9]
	v_fma_f64 v[6:7], v[4:5], v[14:15], -v[6:7]
	v_mul_f64 v[4:5], v[8:9], s[2:3]
	v_mul_f64 v[6:7], v[6:7], s[2:3]
	global_store_dwordx4 v[0:1], v[4:7], off
	s_clause 0x1
	buffer_load_dword v18, off, s[60:63], 0 offset:20
	buffer_load_dword v19, off, s[60:63], 0 offset:24
	v_add_co_u32 v0, vcc_lo, v0, s4
	v_add_co_ci_u32_e32 v1, vcc_lo, s5, v1, vcc_lo
	s_waitcnt vmcnt(0)
	global_load_dwordx4 v[4:7], v[18:19], off offset:272
	ds_read_b128 v[8:11], v244 offset:16656
	ds_read_b128 v[12:15], v244 offset:18240
	s_waitcnt vmcnt(0) lgkmcnt(1)
	v_mul_f64 v[16:17], v[10:11], v[6:7]
	v_mul_f64 v[6:7], v[8:9], v[6:7]
	v_fma_f64 v[8:9], v[8:9], v[4:5], v[16:17]
	v_fma_f64 v[6:7], v[4:5], v[10:11], -v[6:7]
	v_mul_f64 v[4:5], v[8:9], s[2:3]
	v_mul_f64 v[6:7], v[6:7], s[2:3]
	global_store_dwordx4 v[0:1], v[4:7], off
	global_load_dwordx4 v[4:7], v[18:19], off offset:1856
	v_add_co_u32 v0, vcc_lo, v0, s4
	v_add_co_ci_u32_e32 v1, vcc_lo, s5, v1, vcc_lo
	s_waitcnt vmcnt(0) lgkmcnt(0)
	v_mul_f64 v[8:9], v[14:15], v[6:7]
	v_mul_f64 v[6:7], v[12:13], v[6:7]
	v_fma_f64 v[8:9], v[12:13], v[4:5], v[8:9]
	v_fma_f64 v[6:7], v[4:5], v[14:15], -v[6:7]
	v_mul_f64 v[4:5], v[8:9], s[2:3]
	v_mul_f64 v[6:7], v[6:7], s[2:3]
	global_store_dwordx4 v[0:1], v[4:7], off
	s_clause 0x1
	buffer_load_dword v4, off, s[60:63], 0 offset:68
	buffer_load_dword v5, off, s[60:63], 0 offset:72
	v_add_co_u32 v0, vcc_lo, v0, s4
	v_add_co_ci_u32_e32 v1, vcc_lo, s5, v1, vcc_lo
	s_waitcnt vmcnt(0)
	global_load_dwordx4 v[4:7], v[4:5], off offset:1392
	ds_read_b128 v[8:11], v244 offset:19824
	ds_read_b128 v[12:15], v244 offset:21408
	s_waitcnt vmcnt(0) lgkmcnt(1)
	v_mul_f64 v[16:17], v[10:11], v[6:7]
	v_mul_f64 v[6:7], v[8:9], v[6:7]
	v_fma_f64 v[8:9], v[8:9], v[4:5], v[16:17]
	v_fma_f64 v[6:7], v[4:5], v[10:11], -v[6:7]
	v_mul_f64 v[4:5], v[8:9], s[2:3]
	v_mul_f64 v[6:7], v[6:7], s[2:3]
	global_store_dwordx4 v[0:1], v[4:7], off
	s_clause 0x1
	buffer_load_dword v4, off, s[60:63], 0 offset:52
	buffer_load_dword v5, off, s[60:63], 0 offset:56
	v_add_co_u32 v0, vcc_lo, v0, s4
	v_add_co_ci_u32_e32 v1, vcc_lo, s5, v1, vcc_lo
	s_waitcnt vmcnt(0)
	global_load_dwordx4 v[4:7], v[4:5], off offset:928
	s_waitcnt vmcnt(0) lgkmcnt(0)
	v_mul_f64 v[8:9], v[14:15], v[6:7]
	v_mul_f64 v[6:7], v[12:13], v[6:7]
	v_fma_f64 v[8:9], v[12:13], v[4:5], v[8:9]
	v_fma_f64 v[6:7], v[4:5], v[14:15], -v[6:7]
	v_mul_f64 v[4:5], v[8:9], s[2:3]
	v_mul_f64 v[6:7], v[6:7], s[2:3]
	global_store_dwordx4 v[0:1], v[4:7], off
	s_clause 0x1
	buffer_load_dword v4, off, s[60:63], 0 offset:108
	buffer_load_dword v5, off, s[60:63], 0 offset:112
	s_waitcnt vmcnt(0)
	global_load_dwordx4 v[4:7], v[4:5], off offset:464
	ds_read_b128 v[8:11], v244 offset:22992
	ds_read_b128 v[12:15], v244 offset:24576
	s_waitcnt vmcnt(0) lgkmcnt(1)
	v_mul_f64 v[16:17], v[10:11], v[6:7]
	v_mul_f64 v[6:7], v[8:9], v[6:7]
	v_fma_f64 v[8:9], v[8:9], v[4:5], v[16:17]
	buffer_load_dword v16, off, s[60:63], 0 offset:1328 ; 4-byte Folded Reload
	v_fma_f64 v[6:7], v[4:5], v[10:11], -v[6:7]
	v_mul_f64 v[4:5], v[8:9], s[2:3]
	v_add_co_u32 v8, vcc_lo, v0, s4
	v_mul_f64 v[6:7], v[6:7], s[2:3]
	v_add_co_ci_u32_e32 v9, vcc_lo, s5, v1, vcc_lo
	global_store_dwordx4 v[8:9], v[4:7], off
	s_waitcnt vmcnt(0)
	v_lshlrev_b32_e32 v0, 4, v16
	v_mad_u64_u32 v[10:11], null, s8, v16, 0
	global_load_dwordx4 v[4:7], v0, s[6:7]
	s_waitcnt vmcnt(0) lgkmcnt(0)
	v_mul_f64 v[0:1], v[14:15], v[6:7]
	v_mul_f64 v[6:7], v[12:13], v[6:7]
	v_fma_f64 v[0:1], v[12:13], v[4:5], v[0:1]
	v_fma_f64 v[6:7], v[4:5], v[14:15], -v[6:7]
	v_mov_b32_e32 v4, v11
	v_mad_u64_u32 v[11:12], null, s9, v16, v[4:5]
	v_mul_f64 v[4:5], v[0:1], s[2:3]
	v_mul_f64 v[6:7], v[6:7], s[2:3]
	v_lshlrev_b64 v[0:1], 4, v[10:11]
	v_add_co_u32 v0, vcc_lo, v2, v0
	v_add_co_ci_u32_e32 v1, vcc_lo, v3, v1, vcc_lo
	global_store_dwordx4 v[0:1], v[4:7], off
	s_clause 0x1
	buffer_load_dword v0, off, s[60:63], 0 offset:28
	buffer_load_dword v1, off, s[60:63], 0 offset:32
	ds_read_b128 v[4:7], v244 offset:26160
	s_waitcnt vmcnt(0)
	global_load_dwordx4 v[0:3], v[0:1], off offset:1584
	s_waitcnt vmcnt(0) lgkmcnt(0)
	v_mul_f64 v[10:11], v[6:7], v[2:3]
	v_mul_f64 v[2:3], v[4:5], v[2:3]
	v_fma_f64 v[4:5], v[4:5], v[0:1], v[10:11]
	v_fma_f64 v[2:3], v[0:1], v[6:7], -v[2:3]
	v_mad_u64_u32 v[6:7], null, 0xc60, s8, v[8:9]
	v_mul_f64 v[0:1], v[4:5], s[2:3]
	v_mul_f64 v[2:3], v[2:3], s[2:3]
	v_mov_b32_e32 v4, v7
	v_mad_u64_u32 v[4:5], null, 0xc60, s9, v[4:5]
	v_mov_b32_e32 v7, v4
	global_store_dwordx4 v[6:7], v[0:3], off
.LBB0_15:
	s_endpgm
	.section	.rodata,"a",@progbits
	.p2align	6, 0x0
	.amdhsa_kernel bluestein_single_back_len1683_dim1_dp_op_CI_CI
		.amdhsa_group_segment_fixed_size 26928
		.amdhsa_private_segment_fixed_size 1388
		.amdhsa_kernarg_size 104
		.amdhsa_user_sgpr_count 6
		.amdhsa_user_sgpr_private_segment_buffer 1
		.amdhsa_user_sgpr_dispatch_ptr 0
		.amdhsa_user_sgpr_queue_ptr 0
		.amdhsa_user_sgpr_kernarg_segment_ptr 1
		.amdhsa_user_sgpr_dispatch_id 0
		.amdhsa_user_sgpr_flat_scratch_init 0
		.amdhsa_user_sgpr_private_segment_size 0
		.amdhsa_wavefront_size32 1
		.amdhsa_uses_dynamic_stack 0
		.amdhsa_system_sgpr_private_segment_wavefront_offset 1
		.amdhsa_system_sgpr_workgroup_id_x 1
		.amdhsa_system_sgpr_workgroup_id_y 0
		.amdhsa_system_sgpr_workgroup_id_z 0
		.amdhsa_system_sgpr_workgroup_info 0
		.amdhsa_system_vgpr_workitem_id 0
		.amdhsa_next_free_vgpr 256
		.amdhsa_next_free_sgpr 64
		.amdhsa_reserve_vcc 1
		.amdhsa_reserve_flat_scratch 0
		.amdhsa_float_round_mode_32 0
		.amdhsa_float_round_mode_16_64 0
		.amdhsa_float_denorm_mode_32 3
		.amdhsa_float_denorm_mode_16_64 3
		.amdhsa_dx10_clamp 1
		.amdhsa_ieee_mode 1
		.amdhsa_fp16_overflow 0
		.amdhsa_workgroup_processor_mode 1
		.amdhsa_memory_ordered 1
		.amdhsa_forward_progress 0
		.amdhsa_shared_vgpr_count 0
		.amdhsa_exception_fp_ieee_invalid_op 0
		.amdhsa_exception_fp_denorm_src 0
		.amdhsa_exception_fp_ieee_div_zero 0
		.amdhsa_exception_fp_ieee_overflow 0
		.amdhsa_exception_fp_ieee_underflow 0
		.amdhsa_exception_fp_ieee_inexact 0
		.amdhsa_exception_int_div_zero 0
	.end_amdhsa_kernel
	.text
.Lfunc_end0:
	.size	bluestein_single_back_len1683_dim1_dp_op_CI_CI, .Lfunc_end0-bluestein_single_back_len1683_dim1_dp_op_CI_CI
                                        ; -- End function
	.section	.AMDGPU.csdata,"",@progbits
; Kernel info:
; codeLenInByte = 69952
; NumSgprs: 66
; NumVgprs: 256
; ScratchSize: 1388
; MemoryBound: 0
; FloatMode: 240
; IeeeMode: 1
; LDSByteSize: 26928 bytes/workgroup (compile time only)
; SGPRBlocks: 8
; VGPRBlocks: 31
; NumSGPRsForWavesPerEU: 66
; NumVGPRsForWavesPerEU: 256
; Occupancy: 2
; WaveLimiterHint : 1
; COMPUTE_PGM_RSRC2:SCRATCH_EN: 1
; COMPUTE_PGM_RSRC2:USER_SGPR: 6
; COMPUTE_PGM_RSRC2:TRAP_HANDLER: 0
; COMPUTE_PGM_RSRC2:TGID_X_EN: 1
; COMPUTE_PGM_RSRC2:TGID_Y_EN: 0
; COMPUTE_PGM_RSRC2:TGID_Z_EN: 0
; COMPUTE_PGM_RSRC2:TIDIG_COMP_CNT: 0
	.text
	.p2alignl 6, 3214868480
	.fill 48, 4, 3214868480
	.type	__hip_cuid_1d676872856908cc,@object ; @__hip_cuid_1d676872856908cc
	.section	.bss,"aw",@nobits
	.globl	__hip_cuid_1d676872856908cc
__hip_cuid_1d676872856908cc:
	.byte	0                               ; 0x0
	.size	__hip_cuid_1d676872856908cc, 1

	.ident	"AMD clang version 19.0.0git (https://github.com/RadeonOpenCompute/llvm-project roc-6.4.0 25133 c7fe45cf4b819c5991fe208aaa96edf142730f1d)"
	.section	".note.GNU-stack","",@progbits
	.addrsig
	.addrsig_sym __hip_cuid_1d676872856908cc
	.amdgpu_metadata
---
amdhsa.kernels:
  - .args:
      - .actual_access:  read_only
        .address_space:  global
        .offset:         0
        .size:           8
        .value_kind:     global_buffer
      - .actual_access:  read_only
        .address_space:  global
        .offset:         8
        .size:           8
        .value_kind:     global_buffer
      - .actual_access:  read_only
        .address_space:  global
        .offset:         16
        .size:           8
        .value_kind:     global_buffer
      - .actual_access:  read_only
        .address_space:  global
        .offset:         24
        .size:           8
        .value_kind:     global_buffer
      - .actual_access:  read_only
        .address_space:  global
        .offset:         32
        .size:           8
        .value_kind:     global_buffer
      - .offset:         40
        .size:           8
        .value_kind:     by_value
      - .address_space:  global
        .offset:         48
        .size:           8
        .value_kind:     global_buffer
      - .address_space:  global
        .offset:         56
        .size:           8
        .value_kind:     global_buffer
      - .address_space:  global
        .offset:         64
        .size:           8
        .value_kind:     global_buffer
      - .address_space:  global
        .offset:         72
        .size:           8
        .value_kind:     global_buffer
      - .offset:         80
        .size:           4
        .value_kind:     by_value
      - .address_space:  global
        .offset:         88
        .size:           8
        .value_kind:     global_buffer
      - .address_space:  global
        .offset:         96
        .size:           8
        .value_kind:     global_buffer
    .group_segment_fixed_size: 26928
    .kernarg_segment_align: 8
    .kernarg_segment_size: 104
    .language:       OpenCL C
    .language_version:
      - 2
      - 0
    .max_flat_workgroup_size: 51
    .name:           bluestein_single_back_len1683_dim1_dp_op_CI_CI
    .private_segment_fixed_size: 1388
    .sgpr_count:     66
    .sgpr_spill_count: 0
    .symbol:         bluestein_single_back_len1683_dim1_dp_op_CI_CI.kd
    .uniform_work_group_size: 1
    .uses_dynamic_stack: false
    .vgpr_count:     256
    .vgpr_spill_count: 355
    .wavefront_size: 32
    .workgroup_processor_mode: 1
amdhsa.target:   amdgcn-amd-amdhsa--gfx1030
amdhsa.version:
  - 1
  - 2
...

	.end_amdgpu_metadata
